;; amdgpu-corpus repo=ROCm/rocSOLVER kind=compiled arch=gfx1100 opt=O3
	.text
	.amdgcn_target "amdgcn-amd-amdhsa--gfx1100"
	.amdhsa_code_object_version 6
	.section	.text._ZN9rocsolver6v33100L10ger_kernelI19rocblas_complex_numIfEiPKS3_PS3_S6_S6_EEvT0_S7_T1_lT2_lS7_lT3_lS7_lT4_lS7_S7_l,"axG",@progbits,_ZN9rocsolver6v33100L10ger_kernelI19rocblas_complex_numIfEiPKS3_PS3_S6_S6_EEvT0_S7_T1_lT2_lS7_lT3_lS7_lT4_lS7_S7_l,comdat
	.globl	_ZN9rocsolver6v33100L10ger_kernelI19rocblas_complex_numIfEiPKS3_PS3_S6_S6_EEvT0_S7_T1_lT2_lS7_lT3_lS7_lT4_lS7_S7_l ; -- Begin function _ZN9rocsolver6v33100L10ger_kernelI19rocblas_complex_numIfEiPKS3_PS3_S6_S6_EEvT0_S7_T1_lT2_lS7_lT3_lS7_lT4_lS7_S7_l
	.p2align	8
	.type	_ZN9rocsolver6v33100L10ger_kernelI19rocblas_complex_numIfEiPKS3_PS3_S6_S6_EEvT0_S7_T1_lT2_lS7_lT3_lS7_lT4_lS7_S7_l,@function
_ZN9rocsolver6v33100L10ger_kernelI19rocblas_complex_numIfEiPKS3_PS3_S6_S6_EEvT0_S7_T1_lT2_lS7_lT3_lS7_lT4_lS7_S7_l: ; @_ZN9rocsolver6v33100L10ger_kernelI19rocblas_complex_numIfEiPKS3_PS3_S6_S6_EEvT0_S7_T1_lT2_lS7_lT3_lS7_lT4_lS7_S7_l
; %bb.0:
	s_clause 0x1
	s_load_b32 s4, s[0:1], 0x84
	s_load_b64 s[2:3], s[0:1], 0x0
	v_and_b32_e32 v1, 0x3ff, v0
	v_bfe_u32 v4, v0, 10, 10
	s_waitcnt lgkmcnt(0)
	s_lshr_b32 s5, s4, 16
	s_and_b32 s4, s4, 0xffff
	s_delay_alu instid0(SALU_CYCLE_1) | instskip(SKIP_1) | instid1(VALU_DEP_2)
	v_mad_u64_u32 v[2:3], null, s13, s4, v[1:2]
	v_mad_u64_u32 v[0:1], null, s14, s5, v[4:5]
	v_cmp_gt_i32_e32 vcc_lo, s2, v2
	s_delay_alu instid0(VALU_DEP_2) | instskip(NEXT) | instid1(VALU_DEP_1)
	v_cmp_gt_i32_e64 s2, s3, v0
	s_and_b32 s2, vcc_lo, s2
	s_delay_alu instid0(SALU_CYCLE_1)
	s_and_saveexec_b32 s3, s2
	s_cbranch_execz .LBB0_2
; %bb.1:
	s_clause 0x5
	s_load_b256 s[16:23], s[0:1], 0x50
	s_load_b128 s[24:27], s[0:1], 0x30
	s_load_b64 s[2:3], s[0:1], 0x70
	s_load_b32 s14, s[0:1], 0x28
	s_load_b256 s[4:11], s[0:1], 0x8
	s_load_b64 s[12:13], s[0:1], 0x40
	s_waitcnt lgkmcnt(0)
	s_load_b32 s7, s[0:1], 0x48
	s_ashr_i32 s28, s15, 31
	s_mul_i32 s1, s15, s17
	s_mul_hi_u32 s17, s15, s16
	s_mul_i32 s29, s28, s16
	s_add_i32 s1, s17, s1
	s_mul_i32 s0, s15, s16
	s_add_i32 s1, s1, s29
	v_mul_lo_u32 v3, v2, s14
	s_lshl_b64 s[0:1], s[0:1], 3
	s_mul_i32 s25, s15, s25
	s_add_u32 s14, s26, s0
	s_addc_u32 s17, s27, s1
	s_lshl_b64 s[0:1], s[12:13], 3
	s_mul_hi_u32 s30, s15, s24
	s_add_u32 s12, s14, s0
	s_mul_i32 s31, s28, s24
	s_addc_u32 s13, s17, s1
	s_add_i32 s0, s30, s25
	v_ashrrev_i32_e32 v4, 31, v3
	s_mul_i32 s16, s15, s24
	s_waitcnt lgkmcnt(0)
	v_mul_lo_u32 v1, v0, s7
	s_add_i32 s17, s0, s31
	v_mul_lo_u32 v5, v2, s22
	s_lshl_b64 s[0:1], s[16:17], 3
	v_lshlrev_b64 v[3:4], 3, v[3:4]
	s_add_u32 s7, s8, s0
	s_addc_u32 s8, s9, s1
	s_lshl_b64 s[0:1], s[10:11], 3
	v_ashrrev_i32_e32 v2, 31, v1
	s_add_u32 s0, s7, s0
	s_addc_u32 s1, s8, s1
	v_add_co_u32 v3, vcc_lo, s0, v3
	v_mad_u64_u32 v[6:7], null, v0, s23, v[5:6]
	v_add_co_ci_u32_e32 v4, vcc_lo, s1, v4, vcc_lo
	v_lshlrev_b64 v[0:1], 3, v[1:2]
	s_mul_i32 s3, s15, s3
	s_mul_hi_u32 s24, s15, s2
	global_load_b64 v[2:3], v[3:4], off
	s_mul_i32 s28, s28, s2
	s_add_i32 s3, s24, s3
	v_ashrrev_i32_e32 v7, 31, v6
	v_add_co_u32 v0, vcc_lo, s12, v0
	s_mul_i32 s2, s15, s2
	s_add_i32 s3, s3, s28
	v_add_co_ci_u32_e32 v1, vcc_lo, s13, v1, vcc_lo
	s_lshl_b64 s[0:1], s[2:3], 3
	v_lshlrev_b64 v[4:5], 3, v[6:7]
	s_add_u32 s2, s18, s0
	s_addc_u32 s3, s19, s1
	s_lshl_b64 s[0:1], s[20:21], 3
	global_load_b64 v[0:1], v[0:1], off
	s_add_u32 s0, s2, s0
	s_addc_u32 s1, s3, s1
	v_add_co_u32 v4, vcc_lo, s0, v4
	v_add_co_ci_u32_e32 v5, vcc_lo, s1, v5, vcc_lo
	s_mul_i32 s0, s15, s6
	s_delay_alu instid0(SALU_CYCLE_1) | instskip(SKIP_2) | instid1(SALU_CYCLE_1)
	s_ashr_i32 s1, s0, 31
	global_load_b64 v[6:7], v[4:5], off
	s_lshl_b64 s[0:1], s[0:1], 3
	s_add_u32 s0, s4, s0
	s_addc_u32 s1, s5, s1
	s_load_b64 s[0:1], s[0:1], 0x0
	s_waitcnt vmcnt(2) lgkmcnt(0)
	v_mul_f32_e32 v8, s0, v3
	s_delay_alu instid0(VALU_DEP_1) | instskip(NEXT) | instid1(VALU_DEP_1)
	v_dual_mul_f32 v3, s1, v3 :: v_dual_fmac_f32 v8, s1, v2
	v_fma_f32 v2, s0, v2, -v3
	s_waitcnt vmcnt(1)
	s_delay_alu instid0(VALU_DEP_2) | instskip(SKIP_1) | instid1(VALU_DEP_2)
	v_mul_f32_e32 v3, v8, v1
	v_mul_f32_e32 v8, v0, v8
	v_fma_f32 v0, v0, v2, -v3
	s_delay_alu instid0(VALU_DEP_2) | instskip(SKIP_1) | instid1(VALU_DEP_2)
	v_fmac_f32_e32 v8, v2, v1
	s_waitcnt vmcnt(0)
	v_add_f32_e32 v0, v6, v0
	s_delay_alu instid0(VALU_DEP_2)
	v_add_f32_e32 v1, v7, v8
	global_store_b64 v[4:5], v[0:1], off
.LBB0_2:
	s_nop 0
	s_sendmsg sendmsg(MSG_DEALLOC_VGPRS)
	s_endpgm
	.section	.rodata,"a",@progbits
	.p2align	6, 0x0
	.amdhsa_kernel _ZN9rocsolver6v33100L10ger_kernelI19rocblas_complex_numIfEiPKS3_PS3_S6_S6_EEvT0_S7_T1_lT2_lS7_lT3_lS7_lT4_lS7_S7_l
		.amdhsa_group_segment_fixed_size 0
		.amdhsa_private_segment_fixed_size 0
		.amdhsa_kernarg_size 376
		.amdhsa_user_sgpr_count 13
		.amdhsa_user_sgpr_dispatch_ptr 0
		.amdhsa_user_sgpr_queue_ptr 0
		.amdhsa_user_sgpr_kernarg_segment_ptr 1
		.amdhsa_user_sgpr_dispatch_id 0
		.amdhsa_user_sgpr_private_segment_size 0
		.amdhsa_wavefront_size32 1
		.amdhsa_uses_dynamic_stack 0
		.amdhsa_enable_private_segment 0
		.amdhsa_system_sgpr_workgroup_id_x 1
		.amdhsa_system_sgpr_workgroup_id_y 1
		.amdhsa_system_sgpr_workgroup_id_z 1
		.amdhsa_system_sgpr_workgroup_info 0
		.amdhsa_system_vgpr_workitem_id 1
		.amdhsa_next_free_vgpr 9
		.amdhsa_next_free_sgpr 32
		.amdhsa_reserve_vcc 1
		.amdhsa_float_round_mode_32 0
		.amdhsa_float_round_mode_16_64 0
		.amdhsa_float_denorm_mode_32 3
		.amdhsa_float_denorm_mode_16_64 3
		.amdhsa_dx10_clamp 1
		.amdhsa_ieee_mode 1
		.amdhsa_fp16_overflow 0
		.amdhsa_workgroup_processor_mode 1
		.amdhsa_memory_ordered 1
		.amdhsa_forward_progress 0
		.amdhsa_shared_vgpr_count 0
		.amdhsa_exception_fp_ieee_invalid_op 0
		.amdhsa_exception_fp_denorm_src 0
		.amdhsa_exception_fp_ieee_div_zero 0
		.amdhsa_exception_fp_ieee_overflow 0
		.amdhsa_exception_fp_ieee_underflow 0
		.amdhsa_exception_fp_ieee_inexact 0
		.amdhsa_exception_int_div_zero 0
	.end_amdhsa_kernel
	.section	.text._ZN9rocsolver6v33100L10ger_kernelI19rocblas_complex_numIfEiPKS3_PS3_S6_S6_EEvT0_S7_T1_lT2_lS7_lT3_lS7_lT4_lS7_S7_l,"axG",@progbits,_ZN9rocsolver6v33100L10ger_kernelI19rocblas_complex_numIfEiPKS3_PS3_S6_S6_EEvT0_S7_T1_lT2_lS7_lT3_lS7_lT4_lS7_S7_l,comdat
.Lfunc_end0:
	.size	_ZN9rocsolver6v33100L10ger_kernelI19rocblas_complex_numIfEiPKS3_PS3_S6_S6_EEvT0_S7_T1_lT2_lS7_lT3_lS7_lT4_lS7_S7_l, .Lfunc_end0-_ZN9rocsolver6v33100L10ger_kernelI19rocblas_complex_numIfEiPKS3_PS3_S6_S6_EEvT0_S7_T1_lT2_lS7_lT3_lS7_lT4_lS7_S7_l
                                        ; -- End function
	.section	.AMDGPU.csdata,"",@progbits
; Kernel info:
; codeLenInByte = 576
; NumSgprs: 34
; NumVgprs: 9
; ScratchSize: 0
; MemoryBound: 0
; FloatMode: 240
; IeeeMode: 1
; LDSByteSize: 0 bytes/workgroup (compile time only)
; SGPRBlocks: 4
; VGPRBlocks: 1
; NumSGPRsForWavesPerEU: 34
; NumVGPRsForWavesPerEU: 9
; Occupancy: 16
; WaveLimiterHint : 0
; COMPUTE_PGM_RSRC2:SCRATCH_EN: 0
; COMPUTE_PGM_RSRC2:USER_SGPR: 13
; COMPUTE_PGM_RSRC2:TRAP_HANDLER: 0
; COMPUTE_PGM_RSRC2:TGID_X_EN: 1
; COMPUTE_PGM_RSRC2:TGID_Y_EN: 1
; COMPUTE_PGM_RSRC2:TGID_Z_EN: 1
; COMPUTE_PGM_RSRC2:TIDIG_COMP_CNT: 1
	.section	.text._ZN9rocsolver6v33100L10ger_kernelI19rocblas_complex_numIfEiS3_PS3_S4_S4_EEvT0_S5_T1_lT2_lS5_lT3_lS5_lT4_lS5_S5_l,"axG",@progbits,_ZN9rocsolver6v33100L10ger_kernelI19rocblas_complex_numIfEiS3_PS3_S4_S4_EEvT0_S5_T1_lT2_lS5_lT3_lS5_lT4_lS5_S5_l,comdat
	.globl	_ZN9rocsolver6v33100L10ger_kernelI19rocblas_complex_numIfEiS3_PS3_S4_S4_EEvT0_S5_T1_lT2_lS5_lT3_lS5_lT4_lS5_S5_l ; -- Begin function _ZN9rocsolver6v33100L10ger_kernelI19rocblas_complex_numIfEiS3_PS3_S4_S4_EEvT0_S5_T1_lT2_lS5_lT3_lS5_lT4_lS5_S5_l
	.p2align	8
	.type	_ZN9rocsolver6v33100L10ger_kernelI19rocblas_complex_numIfEiS3_PS3_S4_S4_EEvT0_S5_T1_lT2_lS5_lT3_lS5_lT4_lS5_S5_l,@function
_ZN9rocsolver6v33100L10ger_kernelI19rocblas_complex_numIfEiS3_PS3_S4_S4_EEvT0_S5_T1_lT2_lS5_lT3_lS5_lT4_lS5_S5_l: ; @_ZN9rocsolver6v33100L10ger_kernelI19rocblas_complex_numIfEiS3_PS3_S4_S4_EEvT0_S5_T1_lT2_lS5_lT3_lS5_lT4_lS5_S5_l
; %bb.0:
	s_clause 0x1
	s_load_b32 s4, s[0:1], 0x84
	s_load_b64 s[2:3], s[0:1], 0x0
	v_and_b32_e32 v1, 0x3ff, v0
	v_bfe_u32 v4, v0, 10, 10
	s_waitcnt lgkmcnt(0)
	s_lshr_b32 s5, s4, 16
	s_and_b32 s4, s4, 0xffff
	s_delay_alu instid0(SALU_CYCLE_1) | instskip(SKIP_1) | instid1(VALU_DEP_2)
	v_mad_u64_u32 v[2:3], null, s13, s4, v[1:2]
	v_mad_u64_u32 v[0:1], null, s14, s5, v[4:5]
	v_cmp_gt_i32_e32 vcc_lo, s2, v2
	s_delay_alu instid0(VALU_DEP_2) | instskip(NEXT) | instid1(VALU_DEP_1)
	v_cmp_gt_i32_e64 s2, s3, v0
	s_and_b32 s2, vcc_lo, s2
	s_delay_alu instid0(SALU_CYCLE_1)
	s_and_saveexec_b32 s3, s2
	s_cbranch_execz .LBB1_2
; %bb.1:
	s_clause 0x6
	s_load_b256 s[4:11], s[0:1], 0x50
	s_load_b128 s[20:23], s[0:1], 0x30
	s_load_b64 s[2:3], s[0:1], 0x70
	s_load_b32 s24, s[0:1], 0x28
	s_load_b128 s[16:19], s[0:1], 0x18
	s_load_b64 s[12:13], s[0:1], 0x40
	s_load_b32 s25, s[0:1], 0x48
	s_ashr_i32 s26, s15, 31
	s_load_b64 s[0:1], s[0:1], 0x8
	s_waitcnt lgkmcnt(0)
	s_mul_i32 s5, s15, s5
	s_mul_hi_u32 s27, s15, s4
	s_mul_i32 s28, s26, s4
	s_add_i32 s5, s27, s5
	s_mul_i32 s4, s15, s4
	s_add_i32 s5, s5, s28
	v_mul_lo_u32 v3, v2, s24
	s_lshl_b64 s[4:5], s[4:5], 3
	s_mul_i32 s21, s15, s21
	s_add_u32 s22, s22, s4
	s_addc_u32 s23, s23, s5
	s_lshl_b64 s[4:5], s[12:13], 3
	s_mul_hi_u32 s29, s15, s20
	s_add_u32 s12, s22, s4
	s_mul_i32 s30, s26, s20
	s_addc_u32 s13, s23, s5
	s_add_i32 s4, s29, s21
	v_ashrrev_i32_e32 v4, 31, v3
	s_mul_i32 s14, s15, s20
	s_mul_i32 s3, s15, s3
	s_mul_hi_u32 s20, s15, s2
	s_mul_i32 s26, s26, s2
	s_mul_i32 s2, s15, s2
	v_mul_lo_u32 v1, v0, s25
	s_add_i32 s15, s4, s30
	v_mul_lo_u32 v5, v2, s10
	s_lshl_b64 s[4:5], s[14:15], 3
	v_lshlrev_b64 v[3:4], 3, v[3:4]
	s_add_u32 s10, s16, s4
	s_addc_u32 s14, s17, s5
	s_lshl_b64 s[4:5], s[18:19], 3
	v_ashrrev_i32_e32 v2, 31, v1
	s_add_u32 s4, s10, s4
	s_addc_u32 s5, s14, s5
	v_add_co_u32 v3, vcc_lo, s4, v3
	v_mad_u64_u32 v[6:7], null, v0, s11, v[5:6]
	v_add_co_ci_u32_e32 v4, vcc_lo, s5, v4, vcc_lo
	v_lshlrev_b64 v[0:1], 3, v[1:2]
	s_add_i32 s3, s20, s3
	global_load_b64 v[2:3], v[3:4], off
	v_ashrrev_i32_e32 v7, 31, v6
	s_add_i32 s3, s3, s26
	v_add_co_u32 v0, vcc_lo, s12, v0
	v_add_co_ci_u32_e32 v1, vcc_lo, s13, v1, vcc_lo
	s_lshl_b64 s[2:3], s[2:3], 3
	v_lshlrev_b64 v[4:5], 3, v[6:7]
	s_add_u32 s4, s6, s2
	s_addc_u32 s5, s7, s3
	s_lshl_b64 s[2:3], s[8:9], 3
	global_load_b64 v[0:1], v[0:1], off
	s_add_u32 s2, s4, s2
	s_addc_u32 s3, s5, s3
	v_add_co_u32 v4, vcc_lo, s2, v4
	v_add_co_ci_u32_e32 v5, vcc_lo, s3, v5, vcc_lo
	global_load_b64 v[6:7], v[4:5], off
	s_waitcnt vmcnt(2)
	v_mul_f32_e32 v8, s0, v3
	s_delay_alu instid0(VALU_DEP_1) | instskip(NEXT) | instid1(VALU_DEP_1)
	v_dual_mul_f32 v3, s1, v3 :: v_dual_fmac_f32 v8, s1, v2
	v_fma_f32 v2, s0, v2, -v3
	s_waitcnt vmcnt(1)
	s_delay_alu instid0(VALU_DEP_2) | instskip(SKIP_1) | instid1(VALU_DEP_2)
	v_mul_f32_e32 v3, v8, v1
	v_mul_f32_e32 v8, v0, v8
	v_fma_f32 v0, v0, v2, -v3
	s_delay_alu instid0(VALU_DEP_2) | instskip(SKIP_1) | instid1(VALU_DEP_2)
	v_fmac_f32_e32 v8, v2, v1
	s_waitcnt vmcnt(0)
	v_add_f32_e32 v0, v6, v0
	s_delay_alu instid0(VALU_DEP_2)
	v_add_f32_e32 v1, v7, v8
	global_store_b64 v[4:5], v[0:1], off
.LBB1_2:
	s_nop 0
	s_sendmsg sendmsg(MSG_DEALLOC_VGPRS)
	s_endpgm
	.section	.rodata,"a",@progbits
	.p2align	6, 0x0
	.amdhsa_kernel _ZN9rocsolver6v33100L10ger_kernelI19rocblas_complex_numIfEiS3_PS3_S4_S4_EEvT0_S5_T1_lT2_lS5_lT3_lS5_lT4_lS5_S5_l
		.amdhsa_group_segment_fixed_size 0
		.amdhsa_private_segment_fixed_size 0
		.amdhsa_kernarg_size 376
		.amdhsa_user_sgpr_count 13
		.amdhsa_user_sgpr_dispatch_ptr 0
		.amdhsa_user_sgpr_queue_ptr 0
		.amdhsa_user_sgpr_kernarg_segment_ptr 1
		.amdhsa_user_sgpr_dispatch_id 0
		.amdhsa_user_sgpr_private_segment_size 0
		.amdhsa_wavefront_size32 1
		.amdhsa_uses_dynamic_stack 0
		.amdhsa_enable_private_segment 0
		.amdhsa_system_sgpr_workgroup_id_x 1
		.amdhsa_system_sgpr_workgroup_id_y 1
		.amdhsa_system_sgpr_workgroup_id_z 1
		.amdhsa_system_sgpr_workgroup_info 0
		.amdhsa_system_vgpr_workitem_id 1
		.amdhsa_next_free_vgpr 9
		.amdhsa_next_free_sgpr 31
		.amdhsa_reserve_vcc 1
		.amdhsa_float_round_mode_32 0
		.amdhsa_float_round_mode_16_64 0
		.amdhsa_float_denorm_mode_32 3
		.amdhsa_float_denorm_mode_16_64 3
		.amdhsa_dx10_clamp 1
		.amdhsa_ieee_mode 1
		.amdhsa_fp16_overflow 0
		.amdhsa_workgroup_processor_mode 1
		.amdhsa_memory_ordered 1
		.amdhsa_forward_progress 0
		.amdhsa_shared_vgpr_count 0
		.amdhsa_exception_fp_ieee_invalid_op 0
		.amdhsa_exception_fp_denorm_src 0
		.amdhsa_exception_fp_ieee_div_zero 0
		.amdhsa_exception_fp_ieee_overflow 0
		.amdhsa_exception_fp_ieee_underflow 0
		.amdhsa_exception_fp_ieee_inexact 0
		.amdhsa_exception_int_div_zero 0
	.end_amdhsa_kernel
	.section	.text._ZN9rocsolver6v33100L10ger_kernelI19rocblas_complex_numIfEiS3_PS3_S4_S4_EEvT0_S5_T1_lT2_lS5_lT3_lS5_lT4_lS5_S5_l,"axG",@progbits,_ZN9rocsolver6v33100L10ger_kernelI19rocblas_complex_numIfEiS3_PS3_S4_S4_EEvT0_S5_T1_lT2_lS5_lT3_lS5_lT4_lS5_S5_l,comdat
.Lfunc_end1:
	.size	_ZN9rocsolver6v33100L10ger_kernelI19rocblas_complex_numIfEiS3_PS3_S4_S4_EEvT0_S5_T1_lT2_lS5_lT3_lS5_lT4_lS5_S5_l, .Lfunc_end1-_ZN9rocsolver6v33100L10ger_kernelI19rocblas_complex_numIfEiS3_PS3_S4_S4_EEvT0_S5_T1_lT2_lS5_lT3_lS5_lT4_lS5_S5_l
                                        ; -- End function
	.section	.AMDGPU.csdata,"",@progbits
; Kernel info:
; codeLenInByte = 548
; NumSgprs: 33
; NumVgprs: 9
; ScratchSize: 0
; MemoryBound: 0
; FloatMode: 240
; IeeeMode: 1
; LDSByteSize: 0 bytes/workgroup (compile time only)
; SGPRBlocks: 4
; VGPRBlocks: 1
; NumSGPRsForWavesPerEU: 33
; NumVGPRsForWavesPerEU: 9
; Occupancy: 16
; WaveLimiterHint : 1
; COMPUTE_PGM_RSRC2:SCRATCH_EN: 0
; COMPUTE_PGM_RSRC2:USER_SGPR: 13
; COMPUTE_PGM_RSRC2:TRAP_HANDLER: 0
; COMPUTE_PGM_RSRC2:TGID_X_EN: 1
; COMPUTE_PGM_RSRC2:TGID_Y_EN: 1
; COMPUTE_PGM_RSRC2:TGID_Z_EN: 1
; COMPUTE_PGM_RSRC2:TIDIG_COMP_CNT: 1
	.section	.text._ZN9rocsolver6v33100L10ger_kernelI19rocblas_complex_numIfEiPKS3_PKPS3_S8_S8_EEvT0_S9_T1_lT2_lS9_lT3_lS9_lT4_lS9_S9_l,"axG",@progbits,_ZN9rocsolver6v33100L10ger_kernelI19rocblas_complex_numIfEiPKS3_PKPS3_S8_S8_EEvT0_S9_T1_lT2_lS9_lT3_lS9_lT4_lS9_S9_l,comdat
	.globl	_ZN9rocsolver6v33100L10ger_kernelI19rocblas_complex_numIfEiPKS3_PKPS3_S8_S8_EEvT0_S9_T1_lT2_lS9_lT3_lS9_lT4_lS9_S9_l ; -- Begin function _ZN9rocsolver6v33100L10ger_kernelI19rocblas_complex_numIfEiPKS3_PKPS3_S8_S8_EEvT0_S9_T1_lT2_lS9_lT3_lS9_lT4_lS9_S9_l
	.p2align	8
	.type	_ZN9rocsolver6v33100L10ger_kernelI19rocblas_complex_numIfEiPKS3_PKPS3_S8_S8_EEvT0_S9_T1_lT2_lS9_lT3_lS9_lT4_lS9_S9_l,@function
_ZN9rocsolver6v33100L10ger_kernelI19rocblas_complex_numIfEiPKS3_PKPS3_S8_S8_EEvT0_S9_T1_lT2_lS9_lT3_lS9_lT4_lS9_S9_l: ; @_ZN9rocsolver6v33100L10ger_kernelI19rocblas_complex_numIfEiPKS3_PKPS3_S8_S8_EEvT0_S9_T1_lT2_lS9_lT3_lS9_lT4_lS9_S9_l
; %bb.0:
	s_clause 0x1
	s_load_b32 s4, s[0:1], 0x84
	s_load_b64 s[2:3], s[0:1], 0x0
	v_and_b32_e32 v1, 0x3ff, v0
	v_bfe_u32 v4, v0, 10, 10
	s_waitcnt lgkmcnt(0)
	s_lshr_b32 s5, s4, 16
	s_and_b32 s4, s4, 0xffff
	s_delay_alu instid0(SALU_CYCLE_1) | instskip(SKIP_1) | instid1(VALU_DEP_2)
	v_mad_u64_u32 v[2:3], null, s13, s4, v[1:2]
	v_mad_u64_u32 v[0:1], null, s14, s5, v[4:5]
	v_cmp_gt_i32_e32 vcc_lo, s2, v2
	s_delay_alu instid0(VALU_DEP_2) | instskip(NEXT) | instid1(VALU_DEP_1)
	v_cmp_gt_i32_e64 s2, s3, v0
	s_and_b32 s2, vcc_lo, s2
	s_delay_alu instid0(SALU_CYCLE_1)
	s_and_saveexec_b32 s3, s2
	s_cbranch_execz .LBB2_2
; %bb.1:
	s_load_b128 s[16:19], s[0:1], 0x38
	s_mov_b32 s12, s15
	s_ashr_i32 s13, s15, 31
	s_delay_alu instid0(SALU_CYCLE_1)
	s_lshl_b64 s[14:15], s[12:13], 3
	s_load_b32 s13, s[0:1], 0x48
	s_waitcnt lgkmcnt(0)
	s_add_u32 s2, s16, s14
	s_addc_u32 s3, s17, s15
	s_lshl_b64 s[16:17], s[18:19], 3
	s_load_b64 s[18:19], s[0:1], 0x68
	s_load_b64 s[2:3], s[2:3], 0x0
	s_load_b256 s[4:11], s[0:1], 0x8
	s_waitcnt lgkmcnt(0)
	s_load_b32 s7, s[0:1], 0x28
	v_mul_lo_u32 v1, v0, s13
	v_mul_lo_u32 v5, v2, s18
	s_add_u32 s16, s2, s16
	s_addc_u32 s17, s3, s17
	s_add_u32 s2, s8, s14
	s_addc_u32 s3, s9, s15
	s_load_b64 s[8:9], s[2:3], 0x0
	s_load_b128 s[0:3], s[0:1], 0x58
	s_waitcnt lgkmcnt(0)
	v_mul_lo_u32 v3, v2, s7
	s_lshl_b64 s[10:11], s[10:11], 3
	v_ashrrev_i32_e32 v2, 31, v1
	v_mad_u64_u32 v[6:7], null, v0, s19, v[5:6]
	s_delay_alu instid0(VALU_DEP_2) | instskip(NEXT) | instid1(VALU_DEP_4)
	v_lshlrev_b64 v[0:1], 3, v[1:2]
	v_ashrrev_i32_e32 v4, 31, v3
	s_delay_alu instid0(VALU_DEP_3) | instskip(NEXT) | instid1(VALU_DEP_2)
	v_ashrrev_i32_e32 v7, 31, v6
	v_lshlrev_b64 v[3:4], 3, v[3:4]
	s_add_u32 s7, s8, s10
	s_addc_u32 s8, s9, s11
	s_add_u32 s0, s0, s14
	s_addc_u32 s1, s1, s15
	s_delay_alu instid0(VALU_DEP_1)
	v_add_co_u32 v3, vcc_lo, s7, v3
	s_load_b64 s[0:1], s[0:1], 0x0
	v_add_co_ci_u32_e32 v4, vcc_lo, s8, v4, vcc_lo
	v_add_co_u32 v0, vcc_lo, s16, v0
	v_add_co_ci_u32_e32 v1, vcc_lo, s17, v1, vcc_lo
	global_load_b64 v[2:3], v[3:4], off
	v_lshlrev_b64 v[4:5], 3, v[6:7]
	s_lshl_b64 s[2:3], s[2:3], 3
	global_load_b64 v[0:1], v[0:1], off
	s_waitcnt lgkmcnt(0)
	s_add_u32 s0, s0, s2
	s_addc_u32 s1, s1, s3
	v_add_co_u32 v4, vcc_lo, s0, v4
	v_add_co_ci_u32_e32 v5, vcc_lo, s1, v5, vcc_lo
	s_mul_i32 s0, s12, s6
	s_delay_alu instid0(SALU_CYCLE_1) | instskip(SKIP_2) | instid1(SALU_CYCLE_1)
	s_ashr_i32 s1, s0, 31
	global_load_b64 v[6:7], v[4:5], off
	s_lshl_b64 s[0:1], s[0:1], 3
	s_add_u32 s0, s4, s0
	s_addc_u32 s1, s5, s1
	s_load_b64 s[0:1], s[0:1], 0x0
	s_waitcnt vmcnt(2) lgkmcnt(0)
	v_mul_f32_e32 v8, s0, v3
	s_delay_alu instid0(VALU_DEP_1) | instskip(NEXT) | instid1(VALU_DEP_1)
	v_dual_mul_f32 v3, s1, v3 :: v_dual_fmac_f32 v8, s1, v2
	v_fma_f32 v2, s0, v2, -v3
	s_waitcnt vmcnt(1)
	s_delay_alu instid0(VALU_DEP_2) | instskip(SKIP_1) | instid1(VALU_DEP_2)
	v_mul_f32_e32 v3, v8, v1
	v_mul_f32_e32 v8, v0, v8
	v_fma_f32 v0, v0, v2, -v3
	s_delay_alu instid0(VALU_DEP_2) | instskip(SKIP_1) | instid1(VALU_DEP_2)
	v_fmac_f32_e32 v8, v2, v1
	s_waitcnt vmcnt(0)
	v_add_f32_e32 v0, v6, v0
	s_delay_alu instid0(VALU_DEP_2)
	v_add_f32_e32 v1, v7, v8
	global_store_b64 v[4:5], v[0:1], off
.LBB2_2:
	s_nop 0
	s_sendmsg sendmsg(MSG_DEALLOC_VGPRS)
	s_endpgm
	.section	.rodata,"a",@progbits
	.p2align	6, 0x0
	.amdhsa_kernel _ZN9rocsolver6v33100L10ger_kernelI19rocblas_complex_numIfEiPKS3_PKPS3_S8_S8_EEvT0_S9_T1_lT2_lS9_lT3_lS9_lT4_lS9_S9_l
		.amdhsa_group_segment_fixed_size 0
		.amdhsa_private_segment_fixed_size 0
		.amdhsa_kernarg_size 376
		.amdhsa_user_sgpr_count 13
		.amdhsa_user_sgpr_dispatch_ptr 0
		.amdhsa_user_sgpr_queue_ptr 0
		.amdhsa_user_sgpr_kernarg_segment_ptr 1
		.amdhsa_user_sgpr_dispatch_id 0
		.amdhsa_user_sgpr_private_segment_size 0
		.amdhsa_wavefront_size32 1
		.amdhsa_uses_dynamic_stack 0
		.amdhsa_enable_private_segment 0
		.amdhsa_system_sgpr_workgroup_id_x 1
		.amdhsa_system_sgpr_workgroup_id_y 1
		.amdhsa_system_sgpr_workgroup_id_z 1
		.amdhsa_system_sgpr_workgroup_info 0
		.amdhsa_system_vgpr_workitem_id 1
		.amdhsa_next_free_vgpr 9
		.amdhsa_next_free_sgpr 20
		.amdhsa_reserve_vcc 1
		.amdhsa_float_round_mode_32 0
		.amdhsa_float_round_mode_16_64 0
		.amdhsa_float_denorm_mode_32 3
		.amdhsa_float_denorm_mode_16_64 3
		.amdhsa_dx10_clamp 1
		.amdhsa_ieee_mode 1
		.amdhsa_fp16_overflow 0
		.amdhsa_workgroup_processor_mode 1
		.amdhsa_memory_ordered 1
		.amdhsa_forward_progress 0
		.amdhsa_shared_vgpr_count 0
		.amdhsa_exception_fp_ieee_invalid_op 0
		.amdhsa_exception_fp_denorm_src 0
		.amdhsa_exception_fp_ieee_div_zero 0
		.amdhsa_exception_fp_ieee_overflow 0
		.amdhsa_exception_fp_ieee_underflow 0
		.amdhsa_exception_fp_ieee_inexact 0
		.amdhsa_exception_int_div_zero 0
	.end_amdhsa_kernel
	.section	.text._ZN9rocsolver6v33100L10ger_kernelI19rocblas_complex_numIfEiPKS3_PKPS3_S8_S8_EEvT0_S9_T1_lT2_lS9_lT3_lS9_lT4_lS9_S9_l,"axG",@progbits,_ZN9rocsolver6v33100L10ger_kernelI19rocblas_complex_numIfEiPKS3_PKPS3_S8_S8_EEvT0_S9_T1_lT2_lS9_lT3_lS9_lT4_lS9_S9_l,comdat
.Lfunc_end2:
	.size	_ZN9rocsolver6v33100L10ger_kernelI19rocblas_complex_numIfEiPKS3_PKPS3_S8_S8_EEvT0_S9_T1_lT2_lS9_lT3_lS9_lT4_lS9_S9_l, .Lfunc_end2-_ZN9rocsolver6v33100L10ger_kernelI19rocblas_complex_numIfEiPKS3_PKPS3_S8_S8_EEvT0_S9_T1_lT2_lS9_lT3_lS9_lT4_lS9_S9_l
                                        ; -- End function
	.section	.AMDGPU.csdata,"",@progbits
; Kernel info:
; codeLenInByte = 536
; NumSgprs: 22
; NumVgprs: 9
; ScratchSize: 0
; MemoryBound: 0
; FloatMode: 240
; IeeeMode: 1
; LDSByteSize: 0 bytes/workgroup (compile time only)
; SGPRBlocks: 2
; VGPRBlocks: 1
; NumSGPRsForWavesPerEU: 22
; NumVGPRsForWavesPerEU: 9
; Occupancy: 16
; WaveLimiterHint : 1
; COMPUTE_PGM_RSRC2:SCRATCH_EN: 0
; COMPUTE_PGM_RSRC2:USER_SGPR: 13
; COMPUTE_PGM_RSRC2:TRAP_HANDLER: 0
; COMPUTE_PGM_RSRC2:TGID_X_EN: 1
; COMPUTE_PGM_RSRC2:TGID_Y_EN: 1
; COMPUTE_PGM_RSRC2:TGID_Z_EN: 1
; COMPUTE_PGM_RSRC2:TIDIG_COMP_CNT: 1
	.section	.text._ZN9rocsolver6v33100L10ger_kernelI19rocblas_complex_numIfEiS3_PKPS3_S6_S6_EEvT0_S7_T1_lT2_lS7_lT3_lS7_lT4_lS7_S7_l,"axG",@progbits,_ZN9rocsolver6v33100L10ger_kernelI19rocblas_complex_numIfEiS3_PKPS3_S6_S6_EEvT0_S7_T1_lT2_lS7_lT3_lS7_lT4_lS7_S7_l,comdat
	.globl	_ZN9rocsolver6v33100L10ger_kernelI19rocblas_complex_numIfEiS3_PKPS3_S6_S6_EEvT0_S7_T1_lT2_lS7_lT3_lS7_lT4_lS7_S7_l ; -- Begin function _ZN9rocsolver6v33100L10ger_kernelI19rocblas_complex_numIfEiS3_PKPS3_S6_S6_EEvT0_S7_T1_lT2_lS7_lT3_lS7_lT4_lS7_S7_l
	.p2align	8
	.type	_ZN9rocsolver6v33100L10ger_kernelI19rocblas_complex_numIfEiS3_PKPS3_S6_S6_EEvT0_S7_T1_lT2_lS7_lT3_lS7_lT4_lS7_S7_l,@function
_ZN9rocsolver6v33100L10ger_kernelI19rocblas_complex_numIfEiS3_PKPS3_S6_S6_EEvT0_S7_T1_lT2_lS7_lT3_lS7_lT4_lS7_S7_l: ; @_ZN9rocsolver6v33100L10ger_kernelI19rocblas_complex_numIfEiS3_PKPS3_S6_S6_EEvT0_S7_T1_lT2_lS7_lT3_lS7_lT4_lS7_S7_l
; %bb.0:
	s_clause 0x1
	s_load_b32 s5, s[0:1], 0x84
	s_load_b64 s[2:3], s[0:1], 0x0
	v_and_b32_e32 v1, 0x3ff, v0
	v_bfe_u32 v4, v0, 10, 10
	s_waitcnt lgkmcnt(0)
	s_lshr_b32 s6, s5, 16
	s_and_b32 s5, s5, 0xffff
	s_delay_alu instid0(SALU_CYCLE_1) | instskip(SKIP_1) | instid1(VALU_DEP_2)
	v_mad_u64_u32 v[2:3], null, s13, s5, v[1:2]
	v_mad_u64_u32 v[0:1], null, s14, s6, v[4:5]
	v_cmp_gt_i32_e32 vcc_lo, s2, v2
	s_delay_alu instid0(VALU_DEP_2) | instskip(NEXT) | instid1(VALU_DEP_1)
	v_cmp_gt_i32_e64 s2, s3, v0
	s_and_b32 s2, vcc_lo, s2
	s_delay_alu instid0(SALU_CYCLE_1)
	s_and_saveexec_b32 s3, s2
	s_cbranch_execz .LBB3_2
; %bb.1:
	s_mov_b32 s4, s15
	s_clause 0x1
	s_load_b128 s[12:15], s[0:1], 0x38
	s_load_b32 s16, s[0:1], 0x48
	s_ashr_i32 s5, s4, 31
	s_delay_alu instid0(SALU_CYCLE_1)
	s_lshl_b64 s[2:3], s[4:5], 3
	s_waitcnt lgkmcnt(0)
	s_add_u32 s4, s12, s2
	s_addc_u32 s5, s13, s3
	s_load_b64 s[4:5], s[4:5], 0x0
	s_clause 0x1
	s_load_b128 s[8:11], s[0:1], 0x18
	s_load_b32 s17, s[0:1], 0x28
	s_lshl_b64 s[6:7], s[14:15], 3
	s_load_b64 s[12:13], s[0:1], 0x68
	v_mul_lo_u32 v1, v0, s16
	s_waitcnt lgkmcnt(0)
	s_add_u32 s14, s4, s6
	s_addc_u32 s15, s5, s7
	s_add_u32 s4, s8, s2
	s_addc_u32 s5, s9, s3
	s_load_b64 s[8:9], s[4:5], 0x0
	s_load_b128 s[4:7], s[0:1], 0x58
	v_mul_lo_u32 v3, v2, s17
	s_lshl_b64 s[10:11], s[10:11], 3
	v_mul_lo_u32 v5, v2, s12
	v_ashrrev_i32_e32 v2, 31, v1
	s_load_b64 s[0:1], s[0:1], 0x8
	s_delay_alu instid0(VALU_DEP_3) | instskip(NEXT) | instid1(VALU_DEP_3)
	v_ashrrev_i32_e32 v4, 31, v3
	v_mad_u64_u32 v[6:7], null, v0, s13, v[5:6]
	s_delay_alu instid0(VALU_DEP_3) | instskip(NEXT) | instid1(VALU_DEP_3)
	v_lshlrev_b64 v[0:1], 3, v[1:2]
	v_lshlrev_b64 v[3:4], 3, v[3:4]
	s_delay_alu instid0(VALU_DEP_3)
	v_ashrrev_i32_e32 v7, 31, v6
	s_waitcnt lgkmcnt(0)
	s_add_u32 s8, s8, s10
	s_addc_u32 s9, s9, s11
	s_add_u32 s2, s4, s2
	s_addc_u32 s3, s5, s3
	v_add_co_u32 v3, vcc_lo, s8, v3
	s_load_b64 s[2:3], s[2:3], 0x0
	v_add_co_ci_u32_e32 v4, vcc_lo, s9, v4, vcc_lo
	v_add_co_u32 v0, vcc_lo, s14, v0
	v_add_co_ci_u32_e32 v1, vcc_lo, s15, v1, vcc_lo
	global_load_b64 v[2:3], v[3:4], off
	v_lshlrev_b64 v[4:5], 3, v[6:7]
	s_lshl_b64 s[4:5], s[6:7], 3
	global_load_b64 v[0:1], v[0:1], off
	s_waitcnt lgkmcnt(0)
	s_add_u32 s2, s2, s4
	s_addc_u32 s3, s3, s5
	v_add_co_u32 v4, vcc_lo, s2, v4
	v_add_co_ci_u32_e32 v5, vcc_lo, s3, v5, vcc_lo
	global_load_b64 v[6:7], v[4:5], off
	s_waitcnt vmcnt(2)
	v_mul_f32_e32 v8, s0, v3
	s_delay_alu instid0(VALU_DEP_1) | instskip(NEXT) | instid1(VALU_DEP_1)
	v_dual_mul_f32 v3, s1, v3 :: v_dual_fmac_f32 v8, s1, v2
	v_fma_f32 v2, s0, v2, -v3
	s_waitcnt vmcnt(1)
	s_delay_alu instid0(VALU_DEP_2) | instskip(SKIP_1) | instid1(VALU_DEP_2)
	v_mul_f32_e32 v3, v8, v1
	v_mul_f32_e32 v8, v0, v8
	v_fma_f32 v0, v0, v2, -v3
	s_delay_alu instid0(VALU_DEP_2) | instskip(SKIP_1) | instid1(VALU_DEP_2)
	v_fmac_f32_e32 v8, v2, v1
	s_waitcnt vmcnt(0)
	v_add_f32_e32 v0, v6, v0
	s_delay_alu instid0(VALU_DEP_2)
	v_add_f32_e32 v1, v7, v8
	global_store_b64 v[4:5], v[0:1], off
.LBB3_2:
	s_nop 0
	s_sendmsg sendmsg(MSG_DEALLOC_VGPRS)
	s_endpgm
	.section	.rodata,"a",@progbits
	.p2align	6, 0x0
	.amdhsa_kernel _ZN9rocsolver6v33100L10ger_kernelI19rocblas_complex_numIfEiS3_PKPS3_S6_S6_EEvT0_S7_T1_lT2_lS7_lT3_lS7_lT4_lS7_S7_l
		.amdhsa_group_segment_fixed_size 0
		.amdhsa_private_segment_fixed_size 0
		.amdhsa_kernarg_size 376
		.amdhsa_user_sgpr_count 13
		.amdhsa_user_sgpr_dispatch_ptr 0
		.amdhsa_user_sgpr_queue_ptr 0
		.amdhsa_user_sgpr_kernarg_segment_ptr 1
		.amdhsa_user_sgpr_dispatch_id 0
		.amdhsa_user_sgpr_private_segment_size 0
		.amdhsa_wavefront_size32 1
		.amdhsa_uses_dynamic_stack 0
		.amdhsa_enable_private_segment 0
		.amdhsa_system_sgpr_workgroup_id_x 1
		.amdhsa_system_sgpr_workgroup_id_y 1
		.amdhsa_system_sgpr_workgroup_id_z 1
		.amdhsa_system_sgpr_workgroup_info 0
		.amdhsa_system_vgpr_workitem_id 1
		.amdhsa_next_free_vgpr 9
		.amdhsa_next_free_sgpr 18
		.amdhsa_reserve_vcc 1
		.amdhsa_float_round_mode_32 0
		.amdhsa_float_round_mode_16_64 0
		.amdhsa_float_denorm_mode_32 3
		.amdhsa_float_denorm_mode_16_64 3
		.amdhsa_dx10_clamp 1
		.amdhsa_ieee_mode 1
		.amdhsa_fp16_overflow 0
		.amdhsa_workgroup_processor_mode 1
		.amdhsa_memory_ordered 1
		.amdhsa_forward_progress 0
		.amdhsa_shared_vgpr_count 0
		.amdhsa_exception_fp_ieee_invalid_op 0
		.amdhsa_exception_fp_denorm_src 0
		.amdhsa_exception_fp_ieee_div_zero 0
		.amdhsa_exception_fp_ieee_overflow 0
		.amdhsa_exception_fp_ieee_underflow 0
		.amdhsa_exception_fp_ieee_inexact 0
		.amdhsa_exception_int_div_zero 0
	.end_amdhsa_kernel
	.section	.text._ZN9rocsolver6v33100L10ger_kernelI19rocblas_complex_numIfEiS3_PKPS3_S6_S6_EEvT0_S7_T1_lT2_lS7_lT3_lS7_lT4_lS7_S7_l,"axG",@progbits,_ZN9rocsolver6v33100L10ger_kernelI19rocblas_complex_numIfEiS3_PKPS3_S6_S6_EEvT0_S7_T1_lT2_lS7_lT3_lS7_lT4_lS7_S7_l,comdat
.Lfunc_end3:
	.size	_ZN9rocsolver6v33100L10ger_kernelI19rocblas_complex_numIfEiS3_PKPS3_S6_S6_EEvT0_S7_T1_lT2_lS7_lT3_lS7_lT4_lS7_S7_l, .Lfunc_end3-_ZN9rocsolver6v33100L10ger_kernelI19rocblas_complex_numIfEiS3_PKPS3_S6_S6_EEvT0_S7_T1_lT2_lS7_lT3_lS7_lT4_lS7_S7_l
                                        ; -- End function
	.section	.AMDGPU.csdata,"",@progbits
; Kernel info:
; codeLenInByte = 520
; NumSgprs: 20
; NumVgprs: 9
; ScratchSize: 0
; MemoryBound: 0
; FloatMode: 240
; IeeeMode: 1
; LDSByteSize: 0 bytes/workgroup (compile time only)
; SGPRBlocks: 2
; VGPRBlocks: 1
; NumSGPRsForWavesPerEU: 20
; NumVGPRsForWavesPerEU: 9
; Occupancy: 16
; WaveLimiterHint : 1
; COMPUTE_PGM_RSRC2:SCRATCH_EN: 0
; COMPUTE_PGM_RSRC2:USER_SGPR: 13
; COMPUTE_PGM_RSRC2:TRAP_HANDLER: 0
; COMPUTE_PGM_RSRC2:TGID_X_EN: 1
; COMPUTE_PGM_RSRC2:TGID_Y_EN: 1
; COMPUTE_PGM_RSRC2:TGID_Z_EN: 1
; COMPUTE_PGM_RSRC2:TIDIG_COMP_CNT: 1
	.section	.text._ZN9rocsolver6v33100L10ger_kernelI19rocblas_complex_numIfElPKS3_PS3_S6_S6_EEvT0_S7_T1_lT2_lS7_lT3_lS7_lT4_lS7_S7_l,"axG",@progbits,_ZN9rocsolver6v33100L10ger_kernelI19rocblas_complex_numIfElPKS3_PS3_S6_S6_EEvT0_S7_T1_lT2_lS7_lT3_lS7_lT4_lS7_S7_l,comdat
	.globl	_ZN9rocsolver6v33100L10ger_kernelI19rocblas_complex_numIfElPKS3_PS3_S6_S6_EEvT0_S7_T1_lT2_lS7_lT3_lS7_lT4_lS7_S7_l ; -- Begin function _ZN9rocsolver6v33100L10ger_kernelI19rocblas_complex_numIfElPKS3_PS3_S6_S6_EEvT0_S7_T1_lT2_lS7_lT3_lS7_lT4_lS7_S7_l
	.p2align	8
	.type	_ZN9rocsolver6v33100L10ger_kernelI19rocblas_complex_numIfElPKS3_PS3_S6_S6_EEvT0_S7_T1_lT2_lS7_lT3_lS7_lT4_lS7_S7_l,@function
_ZN9rocsolver6v33100L10ger_kernelI19rocblas_complex_numIfElPKS3_PS3_S6_S6_EEvT0_S7_T1_lT2_lS7_lT3_lS7_lT4_lS7_S7_l: ; @_ZN9rocsolver6v33100L10ger_kernelI19rocblas_complex_numIfElPKS3_PS3_S6_S6_EEvT0_S7_T1_lT2_lS7_lT3_lS7_lT4_lS7_S7_l
; %bb.0:
	s_clause 0x1
	s_load_b32 s2, s[0:1], 0x94
	s_load_b512 s[16:31], s[0:1], 0x0
	v_dual_mov_b32 v5, 0 :: v_dual_and_b32 v4, 0x3ff, v0
	s_waitcnt lgkmcnt(0)
	s_and_b32 s3, s2, 0xffff
	s_lshr_b32 s2, s2, 16
	s_delay_alu instid0(VALU_DEP_1) | instskip(SKIP_1) | instid1(VALU_DEP_1)
	v_mad_u64_u32 v[2:3], null, s3, s13, v[4:5]
	v_bfe_u32 v4, v0, 10, 10
	v_mad_u64_u32 v[0:1], null, s2, s14, v[4:5]
	s_delay_alu instid0(VALU_DEP_3) | instskip(NEXT) | instid1(VALU_DEP_2)
	v_cmp_gt_i64_e32 vcc_lo, s[16:17], v[2:3]
	v_cmp_gt_i64_e64 s2, s[18:19], v[0:1]
	s_delay_alu instid0(VALU_DEP_1) | instskip(NEXT) | instid1(SALU_CYCLE_1)
	s_and_b32 s2, vcc_lo, s2
	s_and_saveexec_b32 s3, s2
	s_cbranch_execz .LBB4_2
; %bb.1:
	s_clause 0x1
	s_load_b512 s[36:51], s[0:1], 0x40
	s_load_b64 s[0:1], s[0:1], 0x80
	v_mul_lo_u32 v6, v3, s28
	v_mul_lo_u32 v7, v2, s29
	v_mad_u64_u32 v[4:5], null, v2, s28, 0
	s_mul_i32 s3, s15, s31
	s_mul_hi_u32 s6, s15, s30
	s_mul_i32 s2, s15, s30
	s_delay_alu instid0(VALU_DEP_1) | instskip(NEXT) | instid1(VALU_DEP_1)
	v_add3_u32 v5, v5, v7, v6
	v_lshlrev_b64 v[4:5], 3, v[4:5]
	s_waitcnt lgkmcnt(0)
	s_mul_i32 s5, s15, s43
	s_mul_hi_u32 s7, s15, s42
	s_mul_i32 s4, s15, s42
	s_add_i32 s5, s7, s5
	v_mul_lo_u32 v8, v1, s40
	s_lshl_b64 s[4:5], s[4:5], 3
	v_mul_lo_u32 v9, v0, s41
	s_add_u32 s8, s36, s4
	s_addc_u32 s9, s37, s5
	s_lshl_b64 s[4:5], s[38:39], 3
	v_mad_u64_u32 v[6:7], null, v0, s40, 0
	s_add_u32 s4, s8, s4
	s_addc_u32 s5, s9, s5
	s_add_i32 s3, s6, s3
	v_mul_lo_u32 v10, v3, s48
	s_lshl_b64 s[2:3], s[2:3], 3
	v_mul_lo_u32 v11, v2, s49
	s_add_u32 s6, s24, s2
	s_addc_u32 s8, s25, s3
	s_lshl_b64 s[2:3], s[26:27], 3
	v_add3_u32 v7, v7, v9, v8
	v_mad_u64_u32 v[8:9], null, v2, s48, 0
	s_add_u32 s2, s6, s2
	s_addc_u32 s3, s8, s3
	v_add_co_u32 v4, vcc_lo, s2, v4
	v_lshlrev_b64 v[2:3], 3, v[6:7]
	v_mul_lo_u32 v12, v1, s50
	v_mul_lo_u32 v13, v0, s51
	v_mad_u64_u32 v[6:7], null, v0, s50, 0
	v_add_co_ci_u32_e32 v5, vcc_lo, s3, v5, vcc_lo
	s_mul_i32 s1, s15, s1
	s_mul_hi_u32 s7, s15, s0
	v_add3_u32 v9, v9, v11, v10
	s_mul_i32 s0, s15, s0
	s_add_i32 s1, s7, s1
	global_load_b64 v[0:1], v[4:5], off
	s_lshl_b64 s[0:1], s[0:1], 3
	v_add3_u32 v7, v7, v13, v12
	v_lshlrev_b64 v[4:5], 3, v[8:9]
	s_add_u32 s2, s44, s0
	v_add_co_u32 v2, vcc_lo, s4, v2
	s_addc_u32 s3, s45, s1
	s_lshl_b64 s[0:1], s[46:47], 3
	v_add_co_ci_u32_e32 v3, vcc_lo, s5, v3, vcc_lo
	s_add_u32 s0, s2, s0
	v_lshlrev_b64 v[6:7], 3, v[6:7]
	s_addc_u32 s1, s3, s1
	v_add_co_u32 v4, vcc_lo, s0, v4
	global_load_b64 v[2:3], v[2:3], off
	v_add_co_ci_u32_e32 v5, vcc_lo, s1, v5, vcc_lo
	v_add_co_u32 v4, vcc_lo, v4, v6
	s_mul_i32 s0, s15, s22
	s_delay_alu instid0(VALU_DEP_2) | instskip(SKIP_1) | instid1(SALU_CYCLE_1)
	v_add_co_ci_u32_e32 v5, vcc_lo, v5, v7, vcc_lo
	s_ashr_i32 s1, s0, 31
	s_lshl_b64 s[0:1], s[0:1], 3
	global_load_b64 v[6:7], v[4:5], off
	s_add_u32 s0, s20, s0
	s_addc_u32 s1, s21, s1
	s_load_b64 s[0:1], s[0:1], 0x0
	s_waitcnt vmcnt(2) lgkmcnt(0)
	v_mul_f32_e32 v8, s0, v1
	s_delay_alu instid0(VALU_DEP_1) | instskip(NEXT) | instid1(VALU_DEP_1)
	v_dual_mul_f32 v1, s1, v1 :: v_dual_fmac_f32 v8, s1, v0
	v_fma_f32 v0, s0, v0, -v1
	s_waitcnt vmcnt(1)
	s_delay_alu instid0(VALU_DEP_2) | instskip(NEXT) | instid1(VALU_DEP_1)
	v_dual_mul_f32 v1, v8, v3 :: v_dual_mul_f32 v8, v2, v8
	v_fma_f32 v1, v2, v0, -v1
	s_delay_alu instid0(VALU_DEP_2) | instskip(SKIP_1) | instid1(VALU_DEP_1)
	v_fmac_f32_e32 v8, v0, v3
	s_waitcnt vmcnt(0)
	v_dual_add_f32 v0, v6, v1 :: v_dual_add_f32 v1, v7, v8
	global_store_b64 v[4:5], v[0:1], off
.LBB4_2:
	s_nop 0
	s_sendmsg sendmsg(MSG_DEALLOC_VGPRS)
	s_endpgm
	.section	.rodata,"a",@progbits
	.p2align	6, 0x0
	.amdhsa_kernel _ZN9rocsolver6v33100L10ger_kernelI19rocblas_complex_numIfElPKS3_PS3_S6_S6_EEvT0_S7_T1_lT2_lS7_lT3_lS7_lT4_lS7_S7_l
		.amdhsa_group_segment_fixed_size 0
		.amdhsa_private_segment_fixed_size 0
		.amdhsa_kernarg_size 392
		.amdhsa_user_sgpr_count 13
		.amdhsa_user_sgpr_dispatch_ptr 0
		.amdhsa_user_sgpr_queue_ptr 0
		.amdhsa_user_sgpr_kernarg_segment_ptr 1
		.amdhsa_user_sgpr_dispatch_id 0
		.amdhsa_user_sgpr_private_segment_size 0
		.amdhsa_wavefront_size32 1
		.amdhsa_uses_dynamic_stack 0
		.amdhsa_enable_private_segment 0
		.amdhsa_system_sgpr_workgroup_id_x 1
		.amdhsa_system_sgpr_workgroup_id_y 1
		.amdhsa_system_sgpr_workgroup_id_z 1
		.amdhsa_system_sgpr_workgroup_info 0
		.amdhsa_system_vgpr_workitem_id 1
		.amdhsa_next_free_vgpr 14
		.amdhsa_next_free_sgpr 52
		.amdhsa_reserve_vcc 1
		.amdhsa_float_round_mode_32 0
		.amdhsa_float_round_mode_16_64 0
		.amdhsa_float_denorm_mode_32 3
		.amdhsa_float_denorm_mode_16_64 3
		.amdhsa_dx10_clamp 1
		.amdhsa_ieee_mode 1
		.amdhsa_fp16_overflow 0
		.amdhsa_workgroup_processor_mode 1
		.amdhsa_memory_ordered 1
		.amdhsa_forward_progress 0
		.amdhsa_shared_vgpr_count 0
		.amdhsa_exception_fp_ieee_invalid_op 0
		.amdhsa_exception_fp_denorm_src 0
		.amdhsa_exception_fp_ieee_div_zero 0
		.amdhsa_exception_fp_ieee_overflow 0
		.amdhsa_exception_fp_ieee_underflow 0
		.amdhsa_exception_fp_ieee_inexact 0
		.amdhsa_exception_int_div_zero 0
	.end_amdhsa_kernel
	.section	.text._ZN9rocsolver6v33100L10ger_kernelI19rocblas_complex_numIfElPKS3_PS3_S6_S6_EEvT0_S7_T1_lT2_lS7_lT3_lS7_lT4_lS7_S7_l,"axG",@progbits,_ZN9rocsolver6v33100L10ger_kernelI19rocblas_complex_numIfElPKS3_PS3_S6_S6_EEvT0_S7_T1_lT2_lS7_lT3_lS7_lT4_lS7_S7_l,comdat
.Lfunc_end4:
	.size	_ZN9rocsolver6v33100L10ger_kernelI19rocblas_complex_numIfElPKS3_PS3_S6_S6_EEvT0_S7_T1_lT2_lS7_lT3_lS7_lT4_lS7_S7_l, .Lfunc_end4-_ZN9rocsolver6v33100L10ger_kernelI19rocblas_complex_numIfElPKS3_PS3_S6_S6_EEvT0_S7_T1_lT2_lS7_lT3_lS7_lT4_lS7_S7_l
                                        ; -- End function
	.section	.AMDGPU.csdata,"",@progbits
; Kernel info:
; codeLenInByte = 612
; NumSgprs: 54
; NumVgprs: 14
; ScratchSize: 0
; MemoryBound: 0
; FloatMode: 240
; IeeeMode: 1
; LDSByteSize: 0 bytes/workgroup (compile time only)
; SGPRBlocks: 6
; VGPRBlocks: 1
; NumSGPRsForWavesPerEU: 54
; NumVGPRsForWavesPerEU: 14
; Occupancy: 16
; WaveLimiterHint : 0
; COMPUTE_PGM_RSRC2:SCRATCH_EN: 0
; COMPUTE_PGM_RSRC2:USER_SGPR: 13
; COMPUTE_PGM_RSRC2:TRAP_HANDLER: 0
; COMPUTE_PGM_RSRC2:TGID_X_EN: 1
; COMPUTE_PGM_RSRC2:TGID_Y_EN: 1
; COMPUTE_PGM_RSRC2:TGID_Z_EN: 1
; COMPUTE_PGM_RSRC2:TIDIG_COMP_CNT: 1
	.section	.text._ZN9rocsolver6v33100L10ger_kernelI19rocblas_complex_numIfElS3_PS3_S4_S4_EEvT0_S5_T1_lT2_lS5_lT3_lS5_lT4_lS5_S5_l,"axG",@progbits,_ZN9rocsolver6v33100L10ger_kernelI19rocblas_complex_numIfElS3_PS3_S4_S4_EEvT0_S5_T1_lT2_lS5_lT3_lS5_lT4_lS5_S5_l,comdat
	.globl	_ZN9rocsolver6v33100L10ger_kernelI19rocblas_complex_numIfElS3_PS3_S4_S4_EEvT0_S5_T1_lT2_lS5_lT3_lS5_lT4_lS5_S5_l ; -- Begin function _ZN9rocsolver6v33100L10ger_kernelI19rocblas_complex_numIfElS3_PS3_S4_S4_EEvT0_S5_T1_lT2_lS5_lT3_lS5_lT4_lS5_S5_l
	.p2align	8
	.type	_ZN9rocsolver6v33100L10ger_kernelI19rocblas_complex_numIfElS3_PS3_S4_S4_EEvT0_S5_T1_lT2_lS5_lT3_lS5_lT4_lS5_S5_l,@function
_ZN9rocsolver6v33100L10ger_kernelI19rocblas_complex_numIfElS3_PS3_S4_S4_EEvT0_S5_T1_lT2_lS5_lT3_lS5_lT4_lS5_S5_l: ; @_ZN9rocsolver6v33100L10ger_kernelI19rocblas_complex_numIfElS3_PS3_S4_S4_EEvT0_S5_T1_lT2_lS5_lT3_lS5_lT4_lS5_S5_l
; %bb.0:
	s_clause 0x1
	s_load_b32 s2, s[0:1], 0x94
	s_load_b128 s[4:7], s[0:1], 0x0
	v_dual_mov_b32 v5, 0 :: v_dual_and_b32 v4, 0x3ff, v0
	s_waitcnt lgkmcnt(0)
	s_and_b32 s3, s2, 0xffff
	s_lshr_b32 s2, s2, 16
	s_delay_alu instid0(VALU_DEP_1) | instskip(SKIP_1) | instid1(VALU_DEP_1)
	v_mad_u64_u32 v[2:3], null, s3, s13, v[4:5]
	v_bfe_u32 v4, v0, 10, 10
	v_mad_u64_u32 v[0:1], null, s2, s14, v[4:5]
	s_delay_alu instid0(VALU_DEP_3) | instskip(NEXT) | instid1(VALU_DEP_2)
	v_cmp_gt_i64_e32 vcc_lo, s[4:5], v[2:3]
	v_cmp_gt_i64_e64 s2, s[6:7], v[0:1]
	s_delay_alu instid0(VALU_DEP_1) | instskip(NEXT) | instid1(SALU_CYCLE_1)
	s_and_b32 s2, vcc_lo, s2
	s_and_saveexec_b32 s3, s2
	s_cbranch_execz .LBB5_2
; %bb.1:
	s_clause 0x3
	s_load_b512 s[16:31], s[0:1], 0x20
	s_load_b64 s[2:3], s[0:1], 0x80
	s_load_b256 s[4:11], s[0:1], 0x60
	s_load_b64 s[0:1], s[0:1], 0x10
	s_waitcnt lgkmcnt(0)
	v_mul_lo_u32 v6, v3, s20
	v_mul_lo_u32 v7, v2, s21
	v_mad_u64_u32 v[4:5], null, v2, s20, 0
	s_mul_i32 s13, s15, s31
	s_mul_hi_u32 s31, s15, s30
	s_mul_i32 s12, s15, s30
	s_add_i32 s13, s31, s13
	s_mul_i32 s23, s15, s23
	s_lshl_b64 s[12:13], s[12:13], 3
	s_mul_hi_u32 s30, s15, s22
	s_mul_i32 s14, s15, s22
	s_mul_i32 s3, s15, s3
	s_mul_hi_u32 s22, s15, s2
	s_mul_i32 s2, s15, s2
	s_add_u32 s15, s24, s12
	s_addc_u32 s20, s25, s13
	s_lshl_b64 s[12:13], s[26:27], 3
	v_mul_lo_u32 v8, v1, s28
	v_add3_u32 v5, v5, v7, v6
	v_mul_lo_u32 v9, v0, s29
	v_mad_u64_u32 v[6:7], null, v0, s28, 0
	s_add_u32 s21, s15, s12
	s_addc_u32 s20, s20, s13
	s_add_i32 s15, s30, s23
	v_lshlrev_b64 v[4:5], 3, v[4:5]
	s_lshl_b64 s[12:13], s[14:15], 3
	v_mul_lo_u32 v10, v3, s8
	s_add_u32 s14, s16, s12
	s_addc_u32 s15, s17, s13
	s_lshl_b64 s[12:13], s[18:19], 3
	v_add3_u32 v7, v7, v9, v8
	v_mul_lo_u32 v11, v2, s9
	v_mad_u64_u32 v[8:9], null, v2, s8, 0
	s_add_u32 s12, s14, s12
	s_addc_u32 s13, s15, s13
	v_add_co_u32 v4, vcc_lo, s12, v4
	v_lshlrev_b64 v[2:3], 3, v[6:7]
	v_mul_lo_u32 v12, v1, s10
	v_mul_lo_u32 v13, v0, s11
	v_mad_u64_u32 v[6:7], null, v0, s10, 0
	v_add_co_ci_u32_e32 v5, vcc_lo, s13, v5, vcc_lo
	v_add3_u32 v9, v9, v11, v10
	s_add_i32 s3, s22, s3
	v_add_co_u32 v2, vcc_lo, s21, v2
	global_load_b64 v[0:1], v[4:5], off
	s_lshl_b64 s[2:3], s[2:3], 3
	v_add3_u32 v7, v7, v13, v12
	v_lshlrev_b64 v[4:5], 3, v[8:9]
	s_add_u32 s4, s4, s2
	s_addc_u32 s5, s5, s3
	s_lshl_b64 s[2:3], s[6:7], 3
	v_add_co_ci_u32_e32 v3, vcc_lo, s20, v3, vcc_lo
	s_add_u32 s2, s4, s2
	v_lshlrev_b64 v[6:7], 3, v[6:7]
	s_addc_u32 s3, s5, s3
	v_add_co_u32 v4, vcc_lo, s2, v4
	global_load_b64 v[2:3], v[2:3], off
	v_add_co_ci_u32_e32 v5, vcc_lo, s3, v5, vcc_lo
	v_add_co_u32 v4, vcc_lo, v4, v6
	s_delay_alu instid0(VALU_DEP_2) | instskip(SKIP_3) | instid1(VALU_DEP_1)
	v_add_co_ci_u32_e32 v5, vcc_lo, v5, v7, vcc_lo
	global_load_b64 v[6:7], v[4:5], off
	s_waitcnt vmcnt(2)
	v_mul_f32_e32 v8, s0, v1
	v_dual_mul_f32 v1, s1, v1 :: v_dual_fmac_f32 v8, s1, v0
	s_delay_alu instid0(VALU_DEP_1) | instskip(SKIP_1) | instid1(VALU_DEP_2)
	v_fma_f32 v0, s0, v0, -v1
	s_waitcnt vmcnt(1)
	v_dual_mul_f32 v1, v8, v3 :: v_dual_mul_f32 v8, v2, v8
	s_delay_alu instid0(VALU_DEP_1) | instskip(NEXT) | instid1(VALU_DEP_2)
	v_fma_f32 v1, v2, v0, -v1
	v_fmac_f32_e32 v8, v0, v3
	s_waitcnt vmcnt(0)
	s_delay_alu instid0(VALU_DEP_1)
	v_dual_add_f32 v0, v6, v1 :: v_dual_add_f32 v1, v7, v8
	global_store_b64 v[4:5], v[0:1], off
.LBB5_2:
	s_nop 0
	s_sendmsg sendmsg(MSG_DEALLOC_VGPRS)
	s_endpgm
	.section	.rodata,"a",@progbits
	.p2align	6, 0x0
	.amdhsa_kernel _ZN9rocsolver6v33100L10ger_kernelI19rocblas_complex_numIfElS3_PS3_S4_S4_EEvT0_S5_T1_lT2_lS5_lT3_lS5_lT4_lS5_S5_l
		.amdhsa_group_segment_fixed_size 0
		.amdhsa_private_segment_fixed_size 0
		.amdhsa_kernarg_size 392
		.amdhsa_user_sgpr_count 13
		.amdhsa_user_sgpr_dispatch_ptr 0
		.amdhsa_user_sgpr_queue_ptr 0
		.amdhsa_user_sgpr_kernarg_segment_ptr 1
		.amdhsa_user_sgpr_dispatch_id 0
		.amdhsa_user_sgpr_private_segment_size 0
		.amdhsa_wavefront_size32 1
		.amdhsa_uses_dynamic_stack 0
		.amdhsa_enable_private_segment 0
		.amdhsa_system_sgpr_workgroup_id_x 1
		.amdhsa_system_sgpr_workgroup_id_y 1
		.amdhsa_system_sgpr_workgroup_id_z 1
		.amdhsa_system_sgpr_workgroup_info 0
		.amdhsa_system_vgpr_workitem_id 1
		.amdhsa_next_free_vgpr 14
		.amdhsa_next_free_sgpr 32
		.amdhsa_reserve_vcc 1
		.amdhsa_float_round_mode_32 0
		.amdhsa_float_round_mode_16_64 0
		.amdhsa_float_denorm_mode_32 3
		.amdhsa_float_denorm_mode_16_64 3
		.amdhsa_dx10_clamp 1
		.amdhsa_ieee_mode 1
		.amdhsa_fp16_overflow 0
		.amdhsa_workgroup_processor_mode 1
		.amdhsa_memory_ordered 1
		.amdhsa_forward_progress 0
		.amdhsa_shared_vgpr_count 0
		.amdhsa_exception_fp_ieee_invalid_op 0
		.amdhsa_exception_fp_denorm_src 0
		.amdhsa_exception_fp_ieee_div_zero 0
		.amdhsa_exception_fp_ieee_overflow 0
		.amdhsa_exception_fp_ieee_underflow 0
		.amdhsa_exception_fp_ieee_inexact 0
		.amdhsa_exception_int_div_zero 0
	.end_amdhsa_kernel
	.section	.text._ZN9rocsolver6v33100L10ger_kernelI19rocblas_complex_numIfElS3_PS3_S4_S4_EEvT0_S5_T1_lT2_lS5_lT3_lS5_lT4_lS5_S5_l,"axG",@progbits,_ZN9rocsolver6v33100L10ger_kernelI19rocblas_complex_numIfElS3_PS3_S4_S4_EEvT0_S5_T1_lT2_lS5_lT3_lS5_lT4_lS5_S5_l,comdat
.Lfunc_end5:
	.size	_ZN9rocsolver6v33100L10ger_kernelI19rocblas_complex_numIfElS3_PS3_S4_S4_EEvT0_S5_T1_lT2_lS5_lT3_lS5_lT4_lS5_S5_l, .Lfunc_end5-_ZN9rocsolver6v33100L10ger_kernelI19rocblas_complex_numIfElS3_PS3_S4_S4_EEvT0_S5_T1_lT2_lS5_lT3_lS5_lT4_lS5_S5_l
                                        ; -- End function
	.section	.AMDGPU.csdata,"",@progbits
; Kernel info:
; codeLenInByte = 596
; NumSgprs: 34
; NumVgprs: 14
; ScratchSize: 0
; MemoryBound: 0
; FloatMode: 240
; IeeeMode: 1
; LDSByteSize: 0 bytes/workgroup (compile time only)
; SGPRBlocks: 4
; VGPRBlocks: 1
; NumSGPRsForWavesPerEU: 34
; NumVGPRsForWavesPerEU: 14
; Occupancy: 16
; WaveLimiterHint : 1
; COMPUTE_PGM_RSRC2:SCRATCH_EN: 0
; COMPUTE_PGM_RSRC2:USER_SGPR: 13
; COMPUTE_PGM_RSRC2:TRAP_HANDLER: 0
; COMPUTE_PGM_RSRC2:TGID_X_EN: 1
; COMPUTE_PGM_RSRC2:TGID_Y_EN: 1
; COMPUTE_PGM_RSRC2:TGID_Z_EN: 1
; COMPUTE_PGM_RSRC2:TIDIG_COMP_CNT: 1
	.section	.text._ZN9rocsolver6v33100L10ger_kernelI19rocblas_complex_numIfElPKS3_PKPS3_S8_S8_EEvT0_S9_T1_lT2_lS9_lT3_lS9_lT4_lS9_S9_l,"axG",@progbits,_ZN9rocsolver6v33100L10ger_kernelI19rocblas_complex_numIfElPKS3_PKPS3_S8_S8_EEvT0_S9_T1_lT2_lS9_lT3_lS9_lT4_lS9_S9_l,comdat
	.globl	_ZN9rocsolver6v33100L10ger_kernelI19rocblas_complex_numIfElPKS3_PKPS3_S8_S8_EEvT0_S9_T1_lT2_lS9_lT3_lS9_lT4_lS9_S9_l ; -- Begin function _ZN9rocsolver6v33100L10ger_kernelI19rocblas_complex_numIfElPKS3_PKPS3_S8_S8_EEvT0_S9_T1_lT2_lS9_lT3_lS9_lT4_lS9_S9_l
	.p2align	8
	.type	_ZN9rocsolver6v33100L10ger_kernelI19rocblas_complex_numIfElPKS3_PKPS3_S8_S8_EEvT0_S9_T1_lT2_lS9_lT3_lS9_lT4_lS9_S9_l,@function
_ZN9rocsolver6v33100L10ger_kernelI19rocblas_complex_numIfElPKS3_PKPS3_S8_S8_EEvT0_S9_T1_lT2_lS9_lT3_lS9_lT4_lS9_S9_l: ; @_ZN9rocsolver6v33100L10ger_kernelI19rocblas_complex_numIfElPKS3_PKPS3_S8_S8_EEvT0_S9_T1_lT2_lS9_lT3_lS9_lT4_lS9_S9_l
; %bb.0:
	s_clause 0x1
	s_load_b32 s2, s[0:1], 0x94
	s_load_b256 s[4:11], s[0:1], 0x0
	v_dual_mov_b32 v5, 0 :: v_dual_and_b32 v4, 0x3ff, v0
	s_mov_b32 s21, 0
	s_waitcnt lgkmcnt(0)
	s_and_b32 s3, s2, 0xffff
	s_lshr_b32 s2, s2, 16
	v_mad_u64_u32 v[2:3], null, s3, s13, v[4:5]
	v_bfe_u32 v4, v0, 10, 10
	s_delay_alu instid0(VALU_DEP_1) | instskip(NEXT) | instid1(VALU_DEP_3)
	v_mad_u64_u32 v[0:1], null, s2, s14, v[4:5]
	v_cmp_gt_i64_e32 vcc_lo, s[4:5], v[2:3]
	s_delay_alu instid0(VALU_DEP_2) | instskip(NEXT) | instid1(VALU_DEP_1)
	v_cmp_gt_i64_e64 s2, s[6:7], v[0:1]
	s_and_b32 s2, vcc_lo, s2
	s_delay_alu instid0(SALU_CYCLE_1)
	s_and_saveexec_b32 s3, s2
	s_cbranch_execz .LBB6_2
; %bb.1:
	s_clause 0x1
	s_load_b128 s[24:27], s[0:1], 0x40
	s_load_b64 s[28:29], s[0:1], 0x50
	s_mov_b32 s20, s15
	s_delay_alu instid0(SALU_CYCLE_1)
	s_lshl_b64 s[22:23], s[20:21], 3
	s_waitcnt lgkmcnt(0)
	s_add_u32 s2, s24, s22
	s_addc_u32 s3, s25, s23
	v_mul_lo_u32 v12, v1, s28
	s_load_b64 s[24:25], s[2:3], 0x0
	s_clause 0x1
	s_load_b256 s[12:19], s[0:1], 0x20
	s_load_b256 s[0:7], s[0:1], 0x60
	s_waitcnt lgkmcnt(0)
	s_lshl_b64 s[18:19], s[26:27], 3
	v_mul_lo_u32 v13, v0, s29
	v_mad_u64_u32 v[6:7], null, v0, s28, 0
	s_delay_alu instid0(VALU_DEP_1)
	v_add3_u32 v7, v7, v13, v12
	s_add_u32 s11, s24, s18
	s_addc_u32 s18, s25, s19
	s_add_u32 s12, s12, s22
	s_addc_u32 s13, s13, s23
	v_mul_lo_u32 v10, v3, s16
	s_load_b64 s[12:13], s[12:13], 0x0
	v_mul_lo_u32 v11, v2, s17
	v_mad_u64_u32 v[4:5], null, v2, s16, 0
	v_mul_lo_u32 v14, v3, s4
	v_mul_lo_u32 v15, v2, s5
	v_mad_u64_u32 v[8:9], null, v2, s4, 0
	s_lshl_b64 s[4:5], s[14:15], 3
	v_mul_lo_u32 v16, v1, s6
	v_add3_u32 v5, v5, v11, v10
	v_mul_lo_u32 v17, v0, s7
	v_mad_u64_u32 v[1:2], null, v0, s6, 0
	v_add3_u32 v9, v9, v15, v14
	s_delay_alu instid0(VALU_DEP_4) | instskip(SKIP_1) | instid1(VALU_DEP_3)
	v_lshlrev_b64 v[3:4], 3, v[4:5]
	v_lshlrev_b64 v[5:6], 3, v[6:7]
	v_lshlrev_b64 v[7:8], 3, v[8:9]
	s_waitcnt lgkmcnt(0)
	s_add_u32 s4, s12, s4
	s_addc_u32 s5, s13, s5
	s_add_u32 s0, s0, s22
	s_addc_u32 s1, s1, s23
	v_add_co_u32 v3, vcc_lo, s4, v3
	s_load_b64 s[0:1], s[0:1], 0x0
	v_add_co_ci_u32_e32 v4, vcc_lo, s5, v4, vcc_lo
	v_add3_u32 v2, v2, v17, v16
	v_add_co_u32 v5, vcc_lo, s11, v5
	global_load_b64 v[3:4], v[3:4], off
	s_lshl_b64 s[2:3], s[2:3], 3
	v_add_co_ci_u32_e32 v6, vcc_lo, s18, v6, vcc_lo
	v_lshlrev_b64 v[0:1], 3, v[1:2]
	global_load_b64 v[5:6], v[5:6], off
	s_waitcnt lgkmcnt(0)
	s_add_u32 s0, s0, s2
	s_addc_u32 s1, s1, s3
	v_add_co_u32 v2, vcc_lo, s0, v7
	v_add_co_ci_u32_e32 v7, vcc_lo, s1, v8, vcc_lo
	s_mul_i32 s0, s20, s10
	s_delay_alu instid0(VALU_DEP_2) | instskip(NEXT) | instid1(VALU_DEP_2)
	v_add_co_u32 v0, vcc_lo, v2, v0
	v_add_co_ci_u32_e32 v1, vcc_lo, v7, v1, vcc_lo
	s_ashr_i32 s1, s0, 31
	s_delay_alu instid0(SALU_CYCLE_1)
	s_lshl_b64 s[0:1], s[0:1], 3
	global_load_b64 v[7:8], v[0:1], off
	s_add_u32 s0, s8, s0
	s_addc_u32 s1, s9, s1
	s_load_b64 s[0:1], s[0:1], 0x0
	s_waitcnt vmcnt(2) lgkmcnt(0)
	v_mul_f32_e32 v2, s0, v4
	s_delay_alu instid0(VALU_DEP_1) | instskip(SKIP_1) | instid1(VALU_DEP_1)
	v_fmac_f32_e32 v2, s1, v3
	s_waitcnt vmcnt(1)
	v_dual_mul_f32 v4, s1, v4 :: v_dual_mul_f32 v9, v5, v2
	s_delay_alu instid0(VALU_DEP_1) | instskip(SKIP_1) | instid1(VALU_DEP_2)
	v_fma_f32 v3, s0, v3, -v4
	v_mul_f32_e32 v4, v2, v6
	v_fmac_f32_e32 v9, v3, v6
	s_delay_alu instid0(VALU_DEP_2) | instskip(SKIP_1) | instid1(VALU_DEP_1)
	v_fma_f32 v2, v5, v3, -v4
	s_waitcnt vmcnt(0)
	v_dual_add_f32 v2, v7, v2 :: v_dual_add_f32 v3, v8, v9
	global_store_b64 v[0:1], v[2:3], off
.LBB6_2:
	s_nop 0
	s_sendmsg sendmsg(MSG_DEALLOC_VGPRS)
	s_endpgm
	.section	.rodata,"a",@progbits
	.p2align	6, 0x0
	.amdhsa_kernel _ZN9rocsolver6v33100L10ger_kernelI19rocblas_complex_numIfElPKS3_PKPS3_S8_S8_EEvT0_S9_T1_lT2_lS9_lT3_lS9_lT4_lS9_S9_l
		.amdhsa_group_segment_fixed_size 0
		.amdhsa_private_segment_fixed_size 0
		.amdhsa_kernarg_size 392
		.amdhsa_user_sgpr_count 13
		.amdhsa_user_sgpr_dispatch_ptr 0
		.amdhsa_user_sgpr_queue_ptr 0
		.amdhsa_user_sgpr_kernarg_segment_ptr 1
		.amdhsa_user_sgpr_dispatch_id 0
		.amdhsa_user_sgpr_private_segment_size 0
		.amdhsa_wavefront_size32 1
		.amdhsa_uses_dynamic_stack 0
		.amdhsa_enable_private_segment 0
		.amdhsa_system_sgpr_workgroup_id_x 1
		.amdhsa_system_sgpr_workgroup_id_y 1
		.amdhsa_system_sgpr_workgroup_id_z 1
		.amdhsa_system_sgpr_workgroup_info 0
		.amdhsa_system_vgpr_workitem_id 1
		.amdhsa_next_free_vgpr 18
		.amdhsa_next_free_sgpr 30
		.amdhsa_reserve_vcc 1
		.amdhsa_float_round_mode_32 0
		.amdhsa_float_round_mode_16_64 0
		.amdhsa_float_denorm_mode_32 3
		.amdhsa_float_denorm_mode_16_64 3
		.amdhsa_dx10_clamp 1
		.amdhsa_ieee_mode 1
		.amdhsa_fp16_overflow 0
		.amdhsa_workgroup_processor_mode 1
		.amdhsa_memory_ordered 1
		.amdhsa_forward_progress 0
		.amdhsa_shared_vgpr_count 0
		.amdhsa_exception_fp_ieee_invalid_op 0
		.amdhsa_exception_fp_denorm_src 0
		.amdhsa_exception_fp_ieee_div_zero 0
		.amdhsa_exception_fp_ieee_overflow 0
		.amdhsa_exception_fp_ieee_underflow 0
		.amdhsa_exception_fp_ieee_inexact 0
		.amdhsa_exception_int_div_zero 0
	.end_amdhsa_kernel
	.section	.text._ZN9rocsolver6v33100L10ger_kernelI19rocblas_complex_numIfElPKS3_PKPS3_S8_S8_EEvT0_S9_T1_lT2_lS9_lT3_lS9_lT4_lS9_S9_l,"axG",@progbits,_ZN9rocsolver6v33100L10ger_kernelI19rocblas_complex_numIfElPKS3_PKPS3_S8_S8_EEvT0_S9_T1_lT2_lS9_lT3_lS9_lT4_lS9_S9_l,comdat
.Lfunc_end6:
	.size	_ZN9rocsolver6v33100L10ger_kernelI19rocblas_complex_numIfElPKS3_PKPS3_S8_S8_EEvT0_S9_T1_lT2_lS9_lT3_lS9_lT4_lS9_S9_l, .Lfunc_end6-_ZN9rocsolver6v33100L10ger_kernelI19rocblas_complex_numIfElPKS3_PKPS3_S8_S8_EEvT0_S9_T1_lT2_lS9_lT3_lS9_lT4_lS9_S9_l
                                        ; -- End function
	.section	.AMDGPU.csdata,"",@progbits
; Kernel info:
; codeLenInByte = 632
; NumSgprs: 32
; NumVgprs: 18
; ScratchSize: 0
; MemoryBound: 0
; FloatMode: 240
; IeeeMode: 1
; LDSByteSize: 0 bytes/workgroup (compile time only)
; SGPRBlocks: 3
; VGPRBlocks: 2
; NumSGPRsForWavesPerEU: 32
; NumVGPRsForWavesPerEU: 18
; Occupancy: 16
; WaveLimiterHint : 1
; COMPUTE_PGM_RSRC2:SCRATCH_EN: 0
; COMPUTE_PGM_RSRC2:USER_SGPR: 13
; COMPUTE_PGM_RSRC2:TRAP_HANDLER: 0
; COMPUTE_PGM_RSRC2:TGID_X_EN: 1
; COMPUTE_PGM_RSRC2:TGID_Y_EN: 1
; COMPUTE_PGM_RSRC2:TGID_Z_EN: 1
; COMPUTE_PGM_RSRC2:TIDIG_COMP_CNT: 1
	.section	.text._ZN9rocsolver6v33100L10ger_kernelI19rocblas_complex_numIfElS3_PKPS3_S6_S6_EEvT0_S7_T1_lT2_lS7_lT3_lS7_lT4_lS7_S7_l,"axG",@progbits,_ZN9rocsolver6v33100L10ger_kernelI19rocblas_complex_numIfElS3_PKPS3_S6_S6_EEvT0_S7_T1_lT2_lS7_lT3_lS7_lT4_lS7_S7_l,comdat
	.globl	_ZN9rocsolver6v33100L10ger_kernelI19rocblas_complex_numIfElS3_PKPS3_S6_S6_EEvT0_S7_T1_lT2_lS7_lT3_lS7_lT4_lS7_S7_l ; -- Begin function _ZN9rocsolver6v33100L10ger_kernelI19rocblas_complex_numIfElS3_PKPS3_S6_S6_EEvT0_S7_T1_lT2_lS7_lT3_lS7_lT4_lS7_S7_l
	.p2align	8
	.type	_ZN9rocsolver6v33100L10ger_kernelI19rocblas_complex_numIfElS3_PKPS3_S6_S6_EEvT0_S7_T1_lT2_lS7_lT3_lS7_lT4_lS7_S7_l,@function
_ZN9rocsolver6v33100L10ger_kernelI19rocblas_complex_numIfElS3_PKPS3_S6_S6_EEvT0_S7_T1_lT2_lS7_lT3_lS7_lT4_lS7_S7_l: ; @_ZN9rocsolver6v33100L10ger_kernelI19rocblas_complex_numIfElS3_PKPS3_S6_S6_EEvT0_S7_T1_lT2_lS7_lT3_lS7_lT4_lS7_S7_l
; %bb.0:
	s_clause 0x1
	s_load_b32 s2, s[0:1], 0x94
	s_load_b128 s[8:11], s[0:1], 0x0
	v_dual_mov_b32 v5, 0 :: v_dual_and_b32 v4, 0x3ff, v0
	s_mov_b32 s5, 0
	s_waitcnt lgkmcnt(0)
	s_and_b32 s3, s2, 0xffff
	s_lshr_b32 s2, s2, 16
	v_mad_u64_u32 v[2:3], null, s3, s13, v[4:5]
	v_bfe_u32 v4, v0, 10, 10
	s_delay_alu instid0(VALU_DEP_1) | instskip(NEXT) | instid1(VALU_DEP_3)
	v_mad_u64_u32 v[0:1], null, s2, s14, v[4:5]
	v_cmp_gt_i64_e32 vcc_lo, s[8:9], v[2:3]
	s_delay_alu instid0(VALU_DEP_2) | instskip(NEXT) | instid1(VALU_DEP_1)
	v_cmp_gt_i64_e64 s2, s[10:11], v[0:1]
	s_and_b32 s2, vcc_lo, s2
	s_delay_alu instid0(SALU_CYCLE_1)
	s_and_saveexec_b32 s3, s2
	s_cbranch_execz .LBB7_2
; %bb.1:
	s_load_b128 s[16:19], s[0:1], 0x40
	s_mov_b32 s4, s15
	s_delay_alu instid0(SALU_CYCLE_1)
	s_lshl_b64 s[2:3], s[4:5], 3
	s_waitcnt lgkmcnt(0)
	s_add_u32 s4, s16, s2
	s_addc_u32 s5, s17, s3
	s_lshl_b64 s[18:19], s[18:19], 3
	s_load_b64 s[16:17], s[4:5], 0x0
	s_clause 0x4
	s_load_b128 s[12:15], s[0:1], 0x20
	s_load_b64 s[20:21], s[0:1], 0x30
	s_load_b64 s[22:23], s[0:1], 0x50
	s_load_b256 s[4:11], s[0:1], 0x60
	s_load_b64 s[0:1], s[0:1], 0x10
	s_waitcnt lgkmcnt(0)
	s_add_u32 s16, s16, s18
	s_addc_u32 s17, s17, s19
	s_add_u32 s12, s12, s2
	s_addc_u32 s13, s13, s3
	v_mul_lo_u32 v10, v3, s20
	s_load_b64 s[12:13], s[12:13], 0x0
	v_mul_lo_u32 v11, v2, s21
	v_mad_u64_u32 v[4:5], null, v2, s20, 0
	v_mul_lo_u32 v14, v3, s8
	v_mul_lo_u32 v15, v2, s9
	v_mad_u64_u32 v[8:9], null, v2, s8, 0
	s_lshl_b64 s[8:9], s[14:15], 3
	v_mul_lo_u32 v12, v1, s22
	v_add3_u32 v5, v5, v11, v10
	v_mul_lo_u32 v13, v0, s23
	v_mad_u64_u32 v[6:7], null, v0, s22, 0
	v_mul_lo_u32 v16, v1, s10
	s_delay_alu instid0(VALU_DEP_4)
	v_lshlrev_b64 v[3:4], 3, v[4:5]
	v_mul_lo_u32 v17, v0, s11
	v_mad_u64_u32 v[1:2], null, v0, s10, 0
	v_add3_u32 v9, v9, v15, v14
	s_waitcnt lgkmcnt(0)
	s_add_u32 s8, s12, s8
	s_addc_u32 s9, s13, s9
	s_add_u32 s2, s4, s2
	s_addc_u32 s3, s5, s3
	v_add3_u32 v7, v7, v13, v12
	s_load_b64 s[2:3], s[2:3], 0x0
	v_add_co_u32 v3, vcc_lo, s8, v3
	v_add_co_ci_u32_e32 v4, vcc_lo, s9, v4, vcc_lo
	s_delay_alu instid0(VALU_DEP_3)
	v_lshlrev_b64 v[5:6], 3, v[6:7]
	v_add3_u32 v2, v2, v17, v16
	v_lshlrev_b64 v[7:8], 3, v[8:9]
	global_load_b64 v[3:4], v[3:4], off
	s_lshl_b64 s[4:5], s[6:7], 3
	v_add_co_u32 v5, vcc_lo, s16, v5
	v_add_co_ci_u32_e32 v6, vcc_lo, s17, v6, vcc_lo
	v_lshlrev_b64 v[0:1], 3, v[1:2]
	global_load_b64 v[5:6], v[5:6], off
	s_waitcnt lgkmcnt(0)
	s_add_u32 s2, s2, s4
	s_addc_u32 s3, s3, s5
	v_add_co_u32 v2, vcc_lo, s2, v7
	v_add_co_ci_u32_e32 v7, vcc_lo, s3, v8, vcc_lo
	s_delay_alu instid0(VALU_DEP_2) | instskip(NEXT) | instid1(VALU_DEP_2)
	v_add_co_u32 v0, vcc_lo, v2, v0
	v_add_co_ci_u32_e32 v1, vcc_lo, v7, v1, vcc_lo
	global_load_b64 v[7:8], v[0:1], off
	s_waitcnt vmcnt(2)
	v_mul_f32_e32 v2, s0, v4
	s_delay_alu instid0(VALU_DEP_1) | instskip(SKIP_1) | instid1(VALU_DEP_1)
	v_fmac_f32_e32 v2, s1, v3
	s_waitcnt vmcnt(1)
	v_dual_mul_f32 v4, s1, v4 :: v_dual_mul_f32 v9, v5, v2
	s_delay_alu instid0(VALU_DEP_1) | instskip(SKIP_1) | instid1(VALU_DEP_2)
	v_fma_f32 v3, s0, v3, -v4
	v_mul_f32_e32 v4, v2, v6
	v_fmac_f32_e32 v9, v3, v6
	s_delay_alu instid0(VALU_DEP_2) | instskip(SKIP_1) | instid1(VALU_DEP_1)
	v_fma_f32 v2, v5, v3, -v4
	s_waitcnt vmcnt(0)
	v_dual_add_f32 v2, v7, v2 :: v_dual_add_f32 v3, v8, v9
	global_store_b64 v[0:1], v[2:3], off
.LBB7_2:
	s_nop 0
	s_sendmsg sendmsg(MSG_DEALLOC_VGPRS)
	s_endpgm
	.section	.rodata,"a",@progbits
	.p2align	6, 0x0
	.amdhsa_kernel _ZN9rocsolver6v33100L10ger_kernelI19rocblas_complex_numIfElS3_PKPS3_S6_S6_EEvT0_S7_T1_lT2_lS7_lT3_lS7_lT4_lS7_S7_l
		.amdhsa_group_segment_fixed_size 0
		.amdhsa_private_segment_fixed_size 0
		.amdhsa_kernarg_size 392
		.amdhsa_user_sgpr_count 13
		.amdhsa_user_sgpr_dispatch_ptr 0
		.amdhsa_user_sgpr_queue_ptr 0
		.amdhsa_user_sgpr_kernarg_segment_ptr 1
		.amdhsa_user_sgpr_dispatch_id 0
		.amdhsa_user_sgpr_private_segment_size 0
		.amdhsa_wavefront_size32 1
		.amdhsa_uses_dynamic_stack 0
		.amdhsa_enable_private_segment 0
		.amdhsa_system_sgpr_workgroup_id_x 1
		.amdhsa_system_sgpr_workgroup_id_y 1
		.amdhsa_system_sgpr_workgroup_id_z 1
		.amdhsa_system_sgpr_workgroup_info 0
		.amdhsa_system_vgpr_workitem_id 1
		.amdhsa_next_free_vgpr 18
		.amdhsa_next_free_sgpr 24
		.amdhsa_reserve_vcc 1
		.amdhsa_float_round_mode_32 0
		.amdhsa_float_round_mode_16_64 0
		.amdhsa_float_denorm_mode_32 3
		.amdhsa_float_denorm_mode_16_64 3
		.amdhsa_dx10_clamp 1
		.amdhsa_ieee_mode 1
		.amdhsa_fp16_overflow 0
		.amdhsa_workgroup_processor_mode 1
		.amdhsa_memory_ordered 1
		.amdhsa_forward_progress 0
		.amdhsa_shared_vgpr_count 0
		.amdhsa_exception_fp_ieee_invalid_op 0
		.amdhsa_exception_fp_denorm_src 0
		.amdhsa_exception_fp_ieee_div_zero 0
		.amdhsa_exception_fp_ieee_overflow 0
		.amdhsa_exception_fp_ieee_underflow 0
		.amdhsa_exception_fp_ieee_inexact 0
		.amdhsa_exception_int_div_zero 0
	.end_amdhsa_kernel
	.section	.text._ZN9rocsolver6v33100L10ger_kernelI19rocblas_complex_numIfElS3_PKPS3_S6_S6_EEvT0_S7_T1_lT2_lS7_lT3_lS7_lT4_lS7_S7_l,"axG",@progbits,_ZN9rocsolver6v33100L10ger_kernelI19rocblas_complex_numIfElS3_PKPS3_S6_S6_EEvT0_S7_T1_lT2_lS7_lT3_lS7_lT4_lS7_S7_l,comdat
.Lfunc_end7:
	.size	_ZN9rocsolver6v33100L10ger_kernelI19rocblas_complex_numIfElS3_PKPS3_S6_S6_EEvT0_S7_T1_lT2_lS7_lT3_lS7_lT4_lS7_S7_l, .Lfunc_end7-_ZN9rocsolver6v33100L10ger_kernelI19rocblas_complex_numIfElS3_PKPS3_S6_S6_EEvT0_S7_T1_lT2_lS7_lT3_lS7_lT4_lS7_S7_l
                                        ; -- End function
	.section	.AMDGPU.csdata,"",@progbits
; Kernel info:
; codeLenInByte = 612
; NumSgprs: 26
; NumVgprs: 18
; ScratchSize: 0
; MemoryBound: 0
; FloatMode: 240
; IeeeMode: 1
; LDSByteSize: 0 bytes/workgroup (compile time only)
; SGPRBlocks: 3
; VGPRBlocks: 2
; NumSGPRsForWavesPerEU: 26
; NumVGPRsForWavesPerEU: 18
; Occupancy: 16
; WaveLimiterHint : 1
; COMPUTE_PGM_RSRC2:SCRATCH_EN: 0
; COMPUTE_PGM_RSRC2:USER_SGPR: 13
; COMPUTE_PGM_RSRC2:TRAP_HANDLER: 0
; COMPUTE_PGM_RSRC2:TGID_X_EN: 1
; COMPUTE_PGM_RSRC2:TGID_Y_EN: 1
; COMPUTE_PGM_RSRC2:TGID_Z_EN: 1
; COMPUTE_PGM_RSRC2:TIDIG_COMP_CNT: 1
	.text
	.p2alignl 7, 3214868480
	.fill 96, 4, 3214868480
	.type	__hip_cuid_cbf72eeb2423bc76,@object ; @__hip_cuid_cbf72eeb2423bc76
	.section	.bss,"aw",@nobits
	.globl	__hip_cuid_cbf72eeb2423bc76
__hip_cuid_cbf72eeb2423bc76:
	.byte	0                               ; 0x0
	.size	__hip_cuid_cbf72eeb2423bc76, 1

	.ident	"AMD clang version 19.0.0git (https://github.com/RadeonOpenCompute/llvm-project roc-6.4.0 25133 c7fe45cf4b819c5991fe208aaa96edf142730f1d)"
	.section	".note.GNU-stack","",@progbits
	.addrsig
	.addrsig_sym __hip_cuid_cbf72eeb2423bc76
	.amdgpu_metadata
---
amdhsa.kernels:
  - .args:
      - .offset:         0
        .size:           4
        .value_kind:     by_value
      - .offset:         4
        .size:           4
        .value_kind:     by_value
      - .address_space:  global
        .offset:         8
        .size:           8
        .value_kind:     global_buffer
      - .offset:         16
        .size:           8
        .value_kind:     by_value
      - .address_space:  global
        .offset:         24
        .size:           8
        .value_kind:     global_buffer
      - .offset:         32
        .size:           8
        .value_kind:     by_value
      - .offset:         40
        .size:           4
        .value_kind:     by_value
      - .offset:         48
        .size:           8
        .value_kind:     by_value
      - .address_space:  global
        .offset:         56
        .size:           8
        .value_kind:     global_buffer
      - .offset:         64
        .size:           8
        .value_kind:     by_value
      - .offset:         72
        .size:           4
        .value_kind:     by_value
      - .offset:         80
        .size:           8
        .value_kind:     by_value
      - .address_space:  global
        .offset:         88
        .size:           8
        .value_kind:     global_buffer
      - .offset:         96
        .size:           8
        .value_kind:     by_value
      - .offset:         104
        .size:           4
        .value_kind:     by_value
      - .offset:         108
        .size:           4
        .value_kind:     by_value
      - .offset:         112
        .size:           8
        .value_kind:     by_value
      - .offset:         120
        .size:           4
        .value_kind:     hidden_block_count_x
      - .offset:         124
        .size:           4
        .value_kind:     hidden_block_count_y
      - .offset:         128
        .size:           4
        .value_kind:     hidden_block_count_z
      - .offset:         132
        .size:           2
        .value_kind:     hidden_group_size_x
      - .offset:         134
        .size:           2
        .value_kind:     hidden_group_size_y
      - .offset:         136
        .size:           2
        .value_kind:     hidden_group_size_z
      - .offset:         138
        .size:           2
        .value_kind:     hidden_remainder_x
      - .offset:         140
        .size:           2
        .value_kind:     hidden_remainder_y
      - .offset:         142
        .size:           2
        .value_kind:     hidden_remainder_z
      - .offset:         160
        .size:           8
        .value_kind:     hidden_global_offset_x
      - .offset:         168
        .size:           8
        .value_kind:     hidden_global_offset_y
      - .offset:         176
        .size:           8
        .value_kind:     hidden_global_offset_z
      - .offset:         184
        .size:           2
        .value_kind:     hidden_grid_dims
    .group_segment_fixed_size: 0
    .kernarg_segment_align: 8
    .kernarg_segment_size: 376
    .language:       OpenCL C
    .language_version:
      - 2
      - 0
    .max_flat_workgroup_size: 1024
    .name:           _ZN9rocsolver6v33100L10ger_kernelI19rocblas_complex_numIfEiPKS3_PS3_S6_S6_EEvT0_S7_T1_lT2_lS7_lT3_lS7_lT4_lS7_S7_l
    .private_segment_fixed_size: 0
    .sgpr_count:     34
    .sgpr_spill_count: 0
    .symbol:         _ZN9rocsolver6v33100L10ger_kernelI19rocblas_complex_numIfEiPKS3_PS3_S6_S6_EEvT0_S7_T1_lT2_lS7_lT3_lS7_lT4_lS7_S7_l.kd
    .uniform_work_group_size: 1
    .uses_dynamic_stack: false
    .vgpr_count:     9
    .vgpr_spill_count: 0
    .wavefront_size: 32
    .workgroup_processor_mode: 1
  - .args:
      - .offset:         0
        .size:           4
        .value_kind:     by_value
      - .offset:         4
        .size:           4
        .value_kind:     by_value
      - .offset:         8
        .size:           8
        .value_kind:     by_value
      - .offset:         16
        .size:           8
        .value_kind:     by_value
      - .address_space:  global
        .offset:         24
        .size:           8
        .value_kind:     global_buffer
      - .offset:         32
        .size:           8
        .value_kind:     by_value
      - .offset:         40
        .size:           4
        .value_kind:     by_value
      - .offset:         48
        .size:           8
        .value_kind:     by_value
      - .address_space:  global
        .offset:         56
        .size:           8
        .value_kind:     global_buffer
      - .offset:         64
        .size:           8
        .value_kind:     by_value
      - .offset:         72
        .size:           4
        .value_kind:     by_value
      - .offset:         80
        .size:           8
        .value_kind:     by_value
      - .address_space:  global
        .offset:         88
        .size:           8
        .value_kind:     global_buffer
      - .offset:         96
        .size:           8
        .value_kind:     by_value
      - .offset:         104
        .size:           4
        .value_kind:     by_value
      - .offset:         108
        .size:           4
        .value_kind:     by_value
      - .offset:         112
        .size:           8
        .value_kind:     by_value
      - .offset:         120
        .size:           4
        .value_kind:     hidden_block_count_x
      - .offset:         124
        .size:           4
        .value_kind:     hidden_block_count_y
      - .offset:         128
        .size:           4
        .value_kind:     hidden_block_count_z
      - .offset:         132
        .size:           2
        .value_kind:     hidden_group_size_x
      - .offset:         134
        .size:           2
        .value_kind:     hidden_group_size_y
      - .offset:         136
        .size:           2
        .value_kind:     hidden_group_size_z
      - .offset:         138
        .size:           2
        .value_kind:     hidden_remainder_x
      - .offset:         140
        .size:           2
        .value_kind:     hidden_remainder_y
      - .offset:         142
        .size:           2
        .value_kind:     hidden_remainder_z
      - .offset:         160
        .size:           8
        .value_kind:     hidden_global_offset_x
      - .offset:         168
        .size:           8
        .value_kind:     hidden_global_offset_y
      - .offset:         176
        .size:           8
        .value_kind:     hidden_global_offset_z
      - .offset:         184
        .size:           2
        .value_kind:     hidden_grid_dims
    .group_segment_fixed_size: 0
    .kernarg_segment_align: 8
    .kernarg_segment_size: 376
    .language:       OpenCL C
    .language_version:
      - 2
      - 0
    .max_flat_workgroup_size: 1024
    .name:           _ZN9rocsolver6v33100L10ger_kernelI19rocblas_complex_numIfEiS3_PS3_S4_S4_EEvT0_S5_T1_lT2_lS5_lT3_lS5_lT4_lS5_S5_l
    .private_segment_fixed_size: 0
    .sgpr_count:     33
    .sgpr_spill_count: 0
    .symbol:         _ZN9rocsolver6v33100L10ger_kernelI19rocblas_complex_numIfEiS3_PS3_S4_S4_EEvT0_S5_T1_lT2_lS5_lT3_lS5_lT4_lS5_S5_l.kd
    .uniform_work_group_size: 1
    .uses_dynamic_stack: false
    .vgpr_count:     9
    .vgpr_spill_count: 0
    .wavefront_size: 32
    .workgroup_processor_mode: 1
  - .args:
      - .offset:         0
        .size:           4
        .value_kind:     by_value
      - .offset:         4
        .size:           4
        .value_kind:     by_value
      - .address_space:  global
        .offset:         8
        .size:           8
        .value_kind:     global_buffer
      - .offset:         16
        .size:           8
        .value_kind:     by_value
      - .address_space:  global
        .offset:         24
        .size:           8
        .value_kind:     global_buffer
      - .offset:         32
        .size:           8
        .value_kind:     by_value
      - .offset:         40
        .size:           4
        .value_kind:     by_value
      - .offset:         48
        .size:           8
        .value_kind:     by_value
      - .address_space:  global
        .offset:         56
        .size:           8
        .value_kind:     global_buffer
      - .offset:         64
        .size:           8
        .value_kind:     by_value
      - .offset:         72
        .size:           4
        .value_kind:     by_value
      - .offset:         80
        .size:           8
        .value_kind:     by_value
      - .address_space:  global
        .offset:         88
        .size:           8
        .value_kind:     global_buffer
      - .offset:         96
        .size:           8
        .value_kind:     by_value
      - .offset:         104
        .size:           4
        .value_kind:     by_value
      - .offset:         108
        .size:           4
        .value_kind:     by_value
      - .offset:         112
        .size:           8
        .value_kind:     by_value
      - .offset:         120
        .size:           4
        .value_kind:     hidden_block_count_x
      - .offset:         124
        .size:           4
        .value_kind:     hidden_block_count_y
      - .offset:         128
        .size:           4
        .value_kind:     hidden_block_count_z
      - .offset:         132
        .size:           2
        .value_kind:     hidden_group_size_x
      - .offset:         134
        .size:           2
        .value_kind:     hidden_group_size_y
      - .offset:         136
        .size:           2
        .value_kind:     hidden_group_size_z
      - .offset:         138
        .size:           2
        .value_kind:     hidden_remainder_x
      - .offset:         140
        .size:           2
        .value_kind:     hidden_remainder_y
      - .offset:         142
        .size:           2
        .value_kind:     hidden_remainder_z
      - .offset:         160
        .size:           8
        .value_kind:     hidden_global_offset_x
      - .offset:         168
        .size:           8
        .value_kind:     hidden_global_offset_y
      - .offset:         176
        .size:           8
        .value_kind:     hidden_global_offset_z
      - .offset:         184
        .size:           2
        .value_kind:     hidden_grid_dims
    .group_segment_fixed_size: 0
    .kernarg_segment_align: 8
    .kernarg_segment_size: 376
    .language:       OpenCL C
    .language_version:
      - 2
      - 0
    .max_flat_workgroup_size: 1024
    .name:           _ZN9rocsolver6v33100L10ger_kernelI19rocblas_complex_numIfEiPKS3_PKPS3_S8_S8_EEvT0_S9_T1_lT2_lS9_lT3_lS9_lT4_lS9_S9_l
    .private_segment_fixed_size: 0
    .sgpr_count:     22
    .sgpr_spill_count: 0
    .symbol:         _ZN9rocsolver6v33100L10ger_kernelI19rocblas_complex_numIfEiPKS3_PKPS3_S8_S8_EEvT0_S9_T1_lT2_lS9_lT3_lS9_lT4_lS9_S9_l.kd
    .uniform_work_group_size: 1
    .uses_dynamic_stack: false
    .vgpr_count:     9
    .vgpr_spill_count: 0
    .wavefront_size: 32
    .workgroup_processor_mode: 1
  - .args:
      - .offset:         0
        .size:           4
        .value_kind:     by_value
      - .offset:         4
        .size:           4
        .value_kind:     by_value
      - .offset:         8
        .size:           8
        .value_kind:     by_value
      - .offset:         16
        .size:           8
        .value_kind:     by_value
      - .address_space:  global
        .offset:         24
        .size:           8
        .value_kind:     global_buffer
      - .offset:         32
        .size:           8
        .value_kind:     by_value
      - .offset:         40
        .size:           4
        .value_kind:     by_value
      - .offset:         48
        .size:           8
        .value_kind:     by_value
      - .address_space:  global
        .offset:         56
        .size:           8
        .value_kind:     global_buffer
      - .offset:         64
        .size:           8
        .value_kind:     by_value
      - .offset:         72
        .size:           4
        .value_kind:     by_value
      - .offset:         80
        .size:           8
        .value_kind:     by_value
      - .address_space:  global
        .offset:         88
        .size:           8
        .value_kind:     global_buffer
      - .offset:         96
        .size:           8
        .value_kind:     by_value
      - .offset:         104
        .size:           4
        .value_kind:     by_value
      - .offset:         108
        .size:           4
        .value_kind:     by_value
      - .offset:         112
        .size:           8
        .value_kind:     by_value
      - .offset:         120
        .size:           4
        .value_kind:     hidden_block_count_x
      - .offset:         124
        .size:           4
        .value_kind:     hidden_block_count_y
      - .offset:         128
        .size:           4
        .value_kind:     hidden_block_count_z
      - .offset:         132
        .size:           2
        .value_kind:     hidden_group_size_x
      - .offset:         134
        .size:           2
        .value_kind:     hidden_group_size_y
      - .offset:         136
        .size:           2
        .value_kind:     hidden_group_size_z
      - .offset:         138
        .size:           2
        .value_kind:     hidden_remainder_x
      - .offset:         140
        .size:           2
        .value_kind:     hidden_remainder_y
      - .offset:         142
        .size:           2
        .value_kind:     hidden_remainder_z
      - .offset:         160
        .size:           8
        .value_kind:     hidden_global_offset_x
      - .offset:         168
        .size:           8
        .value_kind:     hidden_global_offset_y
      - .offset:         176
        .size:           8
        .value_kind:     hidden_global_offset_z
      - .offset:         184
        .size:           2
        .value_kind:     hidden_grid_dims
    .group_segment_fixed_size: 0
    .kernarg_segment_align: 8
    .kernarg_segment_size: 376
    .language:       OpenCL C
    .language_version:
      - 2
      - 0
    .max_flat_workgroup_size: 1024
    .name:           _ZN9rocsolver6v33100L10ger_kernelI19rocblas_complex_numIfEiS3_PKPS3_S6_S6_EEvT0_S7_T1_lT2_lS7_lT3_lS7_lT4_lS7_S7_l
    .private_segment_fixed_size: 0
    .sgpr_count:     20
    .sgpr_spill_count: 0
    .symbol:         _ZN9rocsolver6v33100L10ger_kernelI19rocblas_complex_numIfEiS3_PKPS3_S6_S6_EEvT0_S7_T1_lT2_lS7_lT3_lS7_lT4_lS7_S7_l.kd
    .uniform_work_group_size: 1
    .uses_dynamic_stack: false
    .vgpr_count:     9
    .vgpr_spill_count: 0
    .wavefront_size: 32
    .workgroup_processor_mode: 1
  - .args:
      - .offset:         0
        .size:           8
        .value_kind:     by_value
      - .offset:         8
        .size:           8
        .value_kind:     by_value
      - .address_space:  global
        .offset:         16
        .size:           8
        .value_kind:     global_buffer
      - .offset:         24
        .size:           8
        .value_kind:     by_value
      - .address_space:  global
        .offset:         32
        .size:           8
        .value_kind:     global_buffer
      - .offset:         40
        .size:           8
        .value_kind:     by_value
      - .offset:         48
        .size:           8
        .value_kind:     by_value
      - .offset:         56
        .size:           8
        .value_kind:     by_value
      - .address_space:  global
        .offset:         64
        .size:           8
        .value_kind:     global_buffer
      - .offset:         72
        .size:           8
        .value_kind:     by_value
      - .offset:         80
        .size:           8
        .value_kind:     by_value
      - .offset:         88
        .size:           8
        .value_kind:     by_value
      - .address_space:  global
        .offset:         96
        .size:           8
        .value_kind:     global_buffer
      - .offset:         104
        .size:           8
        .value_kind:     by_value
      - .offset:         112
        .size:           8
        .value_kind:     by_value
      - .offset:         120
        .size:           8
        .value_kind:     by_value
      - .offset:         128
        .size:           8
        .value_kind:     by_value
      - .offset:         136
        .size:           4
        .value_kind:     hidden_block_count_x
      - .offset:         140
        .size:           4
        .value_kind:     hidden_block_count_y
      - .offset:         144
        .size:           4
        .value_kind:     hidden_block_count_z
      - .offset:         148
        .size:           2
        .value_kind:     hidden_group_size_x
      - .offset:         150
        .size:           2
        .value_kind:     hidden_group_size_y
      - .offset:         152
        .size:           2
        .value_kind:     hidden_group_size_z
      - .offset:         154
        .size:           2
        .value_kind:     hidden_remainder_x
      - .offset:         156
        .size:           2
        .value_kind:     hidden_remainder_y
      - .offset:         158
        .size:           2
        .value_kind:     hidden_remainder_z
      - .offset:         176
        .size:           8
        .value_kind:     hidden_global_offset_x
      - .offset:         184
        .size:           8
        .value_kind:     hidden_global_offset_y
      - .offset:         192
        .size:           8
        .value_kind:     hidden_global_offset_z
      - .offset:         200
        .size:           2
        .value_kind:     hidden_grid_dims
    .group_segment_fixed_size: 0
    .kernarg_segment_align: 8
    .kernarg_segment_size: 392
    .language:       OpenCL C
    .language_version:
      - 2
      - 0
    .max_flat_workgroup_size: 1024
    .name:           _ZN9rocsolver6v33100L10ger_kernelI19rocblas_complex_numIfElPKS3_PS3_S6_S6_EEvT0_S7_T1_lT2_lS7_lT3_lS7_lT4_lS7_S7_l
    .private_segment_fixed_size: 0
    .sgpr_count:     54
    .sgpr_spill_count: 0
    .symbol:         _ZN9rocsolver6v33100L10ger_kernelI19rocblas_complex_numIfElPKS3_PS3_S6_S6_EEvT0_S7_T1_lT2_lS7_lT3_lS7_lT4_lS7_S7_l.kd
    .uniform_work_group_size: 1
    .uses_dynamic_stack: false
    .vgpr_count:     14
    .vgpr_spill_count: 0
    .wavefront_size: 32
    .workgroup_processor_mode: 1
  - .args:
      - .offset:         0
        .size:           8
        .value_kind:     by_value
      - .offset:         8
        .size:           8
        .value_kind:     by_value
      - .offset:         16
        .size:           8
        .value_kind:     by_value
      - .offset:         24
        .size:           8
        .value_kind:     by_value
      - .address_space:  global
        .offset:         32
        .size:           8
        .value_kind:     global_buffer
      - .offset:         40
        .size:           8
        .value_kind:     by_value
      - .offset:         48
        .size:           8
        .value_kind:     by_value
      - .offset:         56
        .size:           8
        .value_kind:     by_value
      - .address_space:  global
        .offset:         64
        .size:           8
        .value_kind:     global_buffer
      - .offset:         72
        .size:           8
        .value_kind:     by_value
      - .offset:         80
        .size:           8
        .value_kind:     by_value
      - .offset:         88
        .size:           8
        .value_kind:     by_value
      - .address_space:  global
        .offset:         96
        .size:           8
        .value_kind:     global_buffer
      - .offset:         104
        .size:           8
        .value_kind:     by_value
      - .offset:         112
        .size:           8
        .value_kind:     by_value
      - .offset:         120
        .size:           8
        .value_kind:     by_value
      - .offset:         128
        .size:           8
        .value_kind:     by_value
      - .offset:         136
        .size:           4
        .value_kind:     hidden_block_count_x
      - .offset:         140
        .size:           4
        .value_kind:     hidden_block_count_y
      - .offset:         144
        .size:           4
        .value_kind:     hidden_block_count_z
      - .offset:         148
        .size:           2
        .value_kind:     hidden_group_size_x
      - .offset:         150
        .size:           2
        .value_kind:     hidden_group_size_y
      - .offset:         152
        .size:           2
        .value_kind:     hidden_group_size_z
      - .offset:         154
        .size:           2
        .value_kind:     hidden_remainder_x
      - .offset:         156
        .size:           2
        .value_kind:     hidden_remainder_y
      - .offset:         158
        .size:           2
        .value_kind:     hidden_remainder_z
      - .offset:         176
        .size:           8
        .value_kind:     hidden_global_offset_x
      - .offset:         184
        .size:           8
        .value_kind:     hidden_global_offset_y
      - .offset:         192
        .size:           8
        .value_kind:     hidden_global_offset_z
      - .offset:         200
        .size:           2
        .value_kind:     hidden_grid_dims
    .group_segment_fixed_size: 0
    .kernarg_segment_align: 8
    .kernarg_segment_size: 392
    .language:       OpenCL C
    .language_version:
      - 2
      - 0
    .max_flat_workgroup_size: 1024
    .name:           _ZN9rocsolver6v33100L10ger_kernelI19rocblas_complex_numIfElS3_PS3_S4_S4_EEvT0_S5_T1_lT2_lS5_lT3_lS5_lT4_lS5_S5_l
    .private_segment_fixed_size: 0
    .sgpr_count:     34
    .sgpr_spill_count: 0
    .symbol:         _ZN9rocsolver6v33100L10ger_kernelI19rocblas_complex_numIfElS3_PS3_S4_S4_EEvT0_S5_T1_lT2_lS5_lT3_lS5_lT4_lS5_S5_l.kd
    .uniform_work_group_size: 1
    .uses_dynamic_stack: false
    .vgpr_count:     14
    .vgpr_spill_count: 0
    .wavefront_size: 32
    .workgroup_processor_mode: 1
  - .args:
      - .offset:         0
        .size:           8
        .value_kind:     by_value
      - .offset:         8
        .size:           8
        .value_kind:     by_value
      - .address_space:  global
        .offset:         16
        .size:           8
        .value_kind:     global_buffer
      - .offset:         24
        .size:           8
        .value_kind:     by_value
      - .address_space:  global
        .offset:         32
        .size:           8
        .value_kind:     global_buffer
      - .offset:         40
        .size:           8
        .value_kind:     by_value
      - .offset:         48
        .size:           8
        .value_kind:     by_value
      - .offset:         56
        .size:           8
        .value_kind:     by_value
      - .address_space:  global
        .offset:         64
        .size:           8
        .value_kind:     global_buffer
      - .offset:         72
        .size:           8
        .value_kind:     by_value
      - .offset:         80
        .size:           8
        .value_kind:     by_value
      - .offset:         88
        .size:           8
        .value_kind:     by_value
      - .address_space:  global
        .offset:         96
        .size:           8
        .value_kind:     global_buffer
      - .offset:         104
        .size:           8
        .value_kind:     by_value
      - .offset:         112
        .size:           8
        .value_kind:     by_value
      - .offset:         120
        .size:           8
        .value_kind:     by_value
      - .offset:         128
        .size:           8
        .value_kind:     by_value
      - .offset:         136
        .size:           4
        .value_kind:     hidden_block_count_x
      - .offset:         140
        .size:           4
        .value_kind:     hidden_block_count_y
      - .offset:         144
        .size:           4
        .value_kind:     hidden_block_count_z
      - .offset:         148
        .size:           2
        .value_kind:     hidden_group_size_x
      - .offset:         150
        .size:           2
        .value_kind:     hidden_group_size_y
      - .offset:         152
        .size:           2
        .value_kind:     hidden_group_size_z
      - .offset:         154
        .size:           2
        .value_kind:     hidden_remainder_x
      - .offset:         156
        .size:           2
        .value_kind:     hidden_remainder_y
      - .offset:         158
        .size:           2
        .value_kind:     hidden_remainder_z
      - .offset:         176
        .size:           8
        .value_kind:     hidden_global_offset_x
      - .offset:         184
        .size:           8
        .value_kind:     hidden_global_offset_y
      - .offset:         192
        .size:           8
        .value_kind:     hidden_global_offset_z
      - .offset:         200
        .size:           2
        .value_kind:     hidden_grid_dims
    .group_segment_fixed_size: 0
    .kernarg_segment_align: 8
    .kernarg_segment_size: 392
    .language:       OpenCL C
    .language_version:
      - 2
      - 0
    .max_flat_workgroup_size: 1024
    .name:           _ZN9rocsolver6v33100L10ger_kernelI19rocblas_complex_numIfElPKS3_PKPS3_S8_S8_EEvT0_S9_T1_lT2_lS9_lT3_lS9_lT4_lS9_S9_l
    .private_segment_fixed_size: 0
    .sgpr_count:     32
    .sgpr_spill_count: 0
    .symbol:         _ZN9rocsolver6v33100L10ger_kernelI19rocblas_complex_numIfElPKS3_PKPS3_S8_S8_EEvT0_S9_T1_lT2_lS9_lT3_lS9_lT4_lS9_S9_l.kd
    .uniform_work_group_size: 1
    .uses_dynamic_stack: false
    .vgpr_count:     18
    .vgpr_spill_count: 0
    .wavefront_size: 32
    .workgroup_processor_mode: 1
  - .args:
      - .offset:         0
        .size:           8
        .value_kind:     by_value
      - .offset:         8
        .size:           8
        .value_kind:     by_value
      - .offset:         16
        .size:           8
        .value_kind:     by_value
      - .offset:         24
        .size:           8
        .value_kind:     by_value
      - .address_space:  global
        .offset:         32
        .size:           8
        .value_kind:     global_buffer
      - .offset:         40
        .size:           8
        .value_kind:     by_value
      - .offset:         48
        .size:           8
        .value_kind:     by_value
      - .offset:         56
        .size:           8
        .value_kind:     by_value
      - .address_space:  global
        .offset:         64
        .size:           8
        .value_kind:     global_buffer
      - .offset:         72
        .size:           8
        .value_kind:     by_value
      - .offset:         80
        .size:           8
        .value_kind:     by_value
      - .offset:         88
        .size:           8
        .value_kind:     by_value
      - .address_space:  global
        .offset:         96
        .size:           8
        .value_kind:     global_buffer
      - .offset:         104
        .size:           8
        .value_kind:     by_value
      - .offset:         112
        .size:           8
        .value_kind:     by_value
      - .offset:         120
        .size:           8
        .value_kind:     by_value
      - .offset:         128
        .size:           8
        .value_kind:     by_value
      - .offset:         136
        .size:           4
        .value_kind:     hidden_block_count_x
      - .offset:         140
        .size:           4
        .value_kind:     hidden_block_count_y
      - .offset:         144
        .size:           4
        .value_kind:     hidden_block_count_z
      - .offset:         148
        .size:           2
        .value_kind:     hidden_group_size_x
      - .offset:         150
        .size:           2
        .value_kind:     hidden_group_size_y
      - .offset:         152
        .size:           2
        .value_kind:     hidden_group_size_z
      - .offset:         154
        .size:           2
        .value_kind:     hidden_remainder_x
      - .offset:         156
        .size:           2
        .value_kind:     hidden_remainder_y
      - .offset:         158
        .size:           2
        .value_kind:     hidden_remainder_z
      - .offset:         176
        .size:           8
        .value_kind:     hidden_global_offset_x
      - .offset:         184
        .size:           8
        .value_kind:     hidden_global_offset_y
      - .offset:         192
        .size:           8
        .value_kind:     hidden_global_offset_z
      - .offset:         200
        .size:           2
        .value_kind:     hidden_grid_dims
    .group_segment_fixed_size: 0
    .kernarg_segment_align: 8
    .kernarg_segment_size: 392
    .language:       OpenCL C
    .language_version:
      - 2
      - 0
    .max_flat_workgroup_size: 1024
    .name:           _ZN9rocsolver6v33100L10ger_kernelI19rocblas_complex_numIfElS3_PKPS3_S6_S6_EEvT0_S7_T1_lT2_lS7_lT3_lS7_lT4_lS7_S7_l
    .private_segment_fixed_size: 0
    .sgpr_count:     26
    .sgpr_spill_count: 0
    .symbol:         _ZN9rocsolver6v33100L10ger_kernelI19rocblas_complex_numIfElS3_PKPS3_S6_S6_EEvT0_S7_T1_lT2_lS7_lT3_lS7_lT4_lS7_S7_l.kd
    .uniform_work_group_size: 1
    .uses_dynamic_stack: false
    .vgpr_count:     18
    .vgpr_spill_count: 0
    .wavefront_size: 32
    .workgroup_processor_mode: 1
amdhsa.target:   amdgcn-amd-amdhsa--gfx1100
amdhsa.version:
  - 1
  - 2
...

	.end_amdgpu_metadata
